;; amdgpu-corpus repo=LLNL/RAJAPerf kind=compiled arch=gfx1100 opt=O3
	.text
	.amdgcn_target "amdgcn-amd-amdhsa--gfx1100"
	.amdhsa_code_object_version 6
	.section	.text._ZN8rajaperf4apps16intsc_hexhex_hipILm64EEEvPdS2_mS2_,"axG",@progbits,_ZN8rajaperf4apps16intsc_hexhex_hipILm64EEEvPdS2_mS2_,comdat
	.protected	_ZN8rajaperf4apps16intsc_hexhex_hipILm64EEEvPdS2_mS2_ ; -- Begin function _ZN8rajaperf4apps16intsc_hexhex_hipILm64EEEvPdS2_mS2_
	.globl	_ZN8rajaperf4apps16intsc_hexhex_hipILm64EEEvPdS2_mS2_
	.p2align	8
	.type	_ZN8rajaperf4apps16intsc_hexhex_hipILm64EEEvPdS2_mS2_,@function
_ZN8rajaperf4apps16intsc_hexhex_hipILm64EEEvPdS2_mS2_: ; @_ZN8rajaperf4apps16intsc_hexhex_hipILm64EEEvPdS2_mS2_
; %bb.0:
	s_mov_b32 s4, s15
	s_mov_b32 s5, 0
	v_dual_mov_b32 v235, v0 :: v_dual_mov_b32 v236, 0
	s_lshl_b64 s[28:29], s[4:5], 6
	s_add_u32 s2, 0, 0x8e389f80
	s_addc_u32 s3, 0, 15
	s_mul_hi_u32 s6, s2, 0xffffffb8
	s_add_i32 s3, s3, 0x38e38d4
	s_sub_i32 s6, s6, s2
	s_mul_i32 s7, s3, 0xffffffb8
	s_mul_i32 s4, s2, 0xffffffb8
	s_add_i32 s6, s6, s7
	s_mul_hi_u32 s8, s3, s4
	s_mul_i32 s7, s3, s4
	s_mul_i32 s9, s2, s6
	s_mul_hi_u32 s4, s2, s4
	s_mul_hi_u32 s10, s2, s6
	s_add_u32 s4, s4, s9
	s_addc_u32 s9, 0, s10
	s_mul_hi_u32 s10, s3, s6
	s_add_u32 s4, s4, s7
	s_addc_u32 s4, s9, s8
	s_mul_i32 s6, s3, s6
	s_addc_u32 s7, s10, 0
	s_add_u32 s4, s4, s6
	v_or_b32_e32 v0, s28, v235
	v_add_co_u32 v3, s2, s2, s4
	s_addc_u32 s4, 0, s7
	s_cmp_lg_u32 s2, 0
	s_load_b256 s[20:27], s[0:1], 0x0
	s_addc_u32 s2, s3, s4
	v_mul_hi_u32 v4, v0, v3
	v_mad_u64_u32 v[1:2], null, v0, s2, 0
	v_mul_lo_u32 v5, s29, v3
	v_mul_hi_u32 v3, s29, v3
	s_mul_hi_u32 s3, s29, s2
	s_mul_i32 s2, s29, s2
	v_mov_b32_e32 v16, 0
	s_delay_alu instid0(VALU_DEP_4) | instskip(SKIP_1) | instid1(VALU_DEP_2)
	v_add_co_u32 v1, vcc_lo, v4, v1
	v_add_co_ci_u32_e32 v2, vcc_lo, 0, v2, vcc_lo
	v_add_co_u32 v1, vcc_lo, v1, v5
	s_delay_alu instid0(VALU_DEP_2) | instskip(SKIP_1) | instid1(VALU_DEP_2)
	v_add_co_ci_u32_e32 v1, vcc_lo, v2, v3, vcc_lo
	v_add_co_ci_u32_e32 v2, vcc_lo, s3, v236, vcc_lo
	v_add_co_u32 v5, vcc_lo, v1, s2
	s_delay_alu instid0(VALU_DEP_2) | instskip(NEXT) | instid1(VALU_DEP_2)
	v_add_co_ci_u32_e32 v6, vcc_lo, 0, v2, vcc_lo
	v_mad_u64_u32 v[1:2], null, 0x48, v5, 0
	s_delay_alu instid0(VALU_DEP_1) | instskip(NEXT) | instid1(VALU_DEP_2)
	v_mad_u64_u32 v[3:4], null, 0x48, v6, v[2:3]
	v_sub_co_u32 v1, vcc_lo, v0, v1
	s_delay_alu instid0(VALU_DEP_2) | instskip(NEXT) | instid1(VALU_DEP_2)
	v_sub_co_ci_u32_e32 v2, vcc_lo, s29, v3, vcc_lo
	v_subrev_co_u32 v3, vcc_lo, 0x48, v1
	s_delay_alu instid0(VALU_DEP_2) | instskip(NEXT) | instid1(VALU_DEP_2)
	v_subrev_co_ci_u32_e32 v4, vcc_lo, 0, v2, vcc_lo
	v_cmp_lt_u32_e32 vcc_lo, 0x47, v3
	v_cmp_eq_u32_e64 s0, 0, v2
	v_cndmask_b32_e64 v3, 0, -1, vcc_lo
	v_add_co_u32 v7, vcc_lo, v5, 2
	v_add_co_ci_u32_e32 v8, vcc_lo, 0, v6, vcc_lo
	v_cmp_lt_u32_e32 vcc_lo, 0x47, v1
	v_cndmask_b32_e64 v1, 0, -1, vcc_lo
	v_cmp_eq_u32_e32 vcc_lo, 0, v4
	s_delay_alu instid0(VALU_DEP_2) | instskip(SKIP_3) | instid1(VALU_DEP_3)
	v_cndmask_b32_e64 v1, -1, v1, s0
	v_cndmask_b32_e32 v3, -1, v3, vcc_lo
	v_add_co_u32 v4, vcc_lo, v5, 1
	v_add_co_ci_u32_e32 v9, vcc_lo, 0, v6, vcc_lo
	v_cmp_ne_u32_e32 vcc_lo, 0, v3
	s_delay_alu instid0(VALU_DEP_2) | instskip(SKIP_1) | instid1(VALU_DEP_2)
	v_dual_cndmask_b32 v2, v9, v8 :: v_dual_cndmask_b32 v3, v4, v7
	v_cmp_ne_u32_e32 vcc_lo, 0, v1
	v_dual_mov_b32 v17, 0 :: v_dual_cndmask_b32 v24, v5, v3
	s_delay_alu instid0(VALU_DEP_3) | instskip(NEXT) | instid1(VALU_DEP_2)
	v_cndmask_b32_e32 v25, v6, v2, vcc_lo
	v_dual_mov_b32 v19, v17 :: v_dual_mov_b32 v18, v16
	v_mov_b32_e32 v21, v17
	v_dual_mov_b32 v23, v17 :: v_dual_mov_b32 v22, v16
	s_waitcnt lgkmcnt(0)
	v_cmp_gt_u64_e32 vcc_lo, s[24:25], v[24:25]
	v_mov_b32_e32 v20, v16
	s_and_saveexec_b32 s24, vcc_lo
	s_cbranch_execz .LBB0_125
; %bb.1:
	s_add_u32 s0, 0, 0xaaa80000
	s_addc_u32 s1, 0, 0xaa
	s_mul_hi_u32 s3, s0, -6
	s_add_i32 s1, s1, 0x2aaaaa00
	s_sub_i32 s3, s3, s0
	s_mul_i32 s4, s1, -6
	s_mul_i32 s2, s0, -6
	s_add_i32 s3, s3, s4
	s_mul_hi_u32 s6, s1, s2
	s_mul_i32 s4, s1, s2
	s_mul_i32 s7, s0, s3
	s_mul_hi_u32 s2, s0, s2
	s_mul_hi_u32 s8, s0, s3
	s_add_u32 s2, s2, s7
	s_addc_u32 s7, 0, s8
	s_mul_hi_u32 s8, s1, s3
	s_add_u32 s2, s2, s4
	s_addc_u32 s2, s7, s6
	s_mul_i32 s3, s1, s3
	s_addc_u32 s4, s8, 0
	s_add_u32 s2, s2, s3
	v_mul_lo_u32 v26, 0xc0, v25
	v_add_co_u32 v5, s0, s0, s2
	s_addc_u32 s2, 0, s4
	s_cmp_lg_u32 s0, 0
	v_mov_b32_e32 v254, -1
	s_addc_u32 s0, s1, s2
	v_mul_hi_u32 v6, v0, v5
	v_mad_u64_u32 v[1:2], null, v0, s0, 0
	v_mad_u64_u32 v[3:4], null, s29, v5, 0
	v_dual_mov_b32 v255, 4 :: v_dual_mov_b32 v252, 1
	v_add_nc_u32_e64 v228, 16, 40
	v_mov_b32_e32 v253, 2
	v_add_co_u32 v5, vcc_lo, v6, v1
	v_add_co_ci_u32_e32 v6, vcc_lo, 0, v2, vcc_lo
	v_mad_u64_u32 v[1:2], null, s29, s0, 0
	s_delay_alu instid0(VALU_DEP_3) | instskip(NEXT) | instid1(VALU_DEP_3)
	v_add_co_u32 v3, vcc_lo, v5, v3
	v_add_co_ci_u32_e32 v3, vcc_lo, v6, v4, vcc_lo
                                        ; implicit-def: $sgpr15
	s_delay_alu instid0(VALU_DEP_3) | instskip(NEXT) | instid1(VALU_DEP_2)
	v_add_co_ci_u32_e32 v2, vcc_lo, 0, v2, vcc_lo
	v_add_co_u32 v5, vcc_lo, v3, v1
	s_delay_alu instid0(VALU_DEP_2) | instskip(NEXT) | instid1(VALU_DEP_2)
	v_add_co_ci_u32_e32 v6, vcc_lo, 0, v2, vcc_lo
	v_mad_u64_u32 v[1:2], null, v5, 6, 0
	s_delay_alu instid0(VALU_DEP_1) | instskip(NEXT) | instid1(VALU_DEP_2)
	v_mad_u64_u32 v[3:4], null, v6, 6, v[2:3]
	v_sub_co_u32 v1, vcc_lo, v0, v1
	s_delay_alu instid0(VALU_DEP_2) | instskip(NEXT) | instid1(VALU_DEP_2)
	v_sub_co_ci_u32_e32 v2, vcc_lo, s29, v3, vcc_lo
	v_sub_co_u32 v3, vcc_lo, v1, 6
	s_delay_alu instid0(VALU_DEP_2) | instskip(NEXT) | instid1(VALU_DEP_2)
	v_subrev_co_ci_u32_e32 v4, vcc_lo, 0, v2, vcc_lo
	v_cmp_lt_u32_e32 vcc_lo, 5, v3
	v_cmp_eq_u32_e64 s0, 0, v2
	v_cndmask_b32_e64 v3, 0, -1, vcc_lo
	v_add_co_u32 v7, vcc_lo, v5, 2
	v_add_co_ci_u32_e32 v8, vcc_lo, 0, v6, vcc_lo
	v_cmp_lt_u32_e32 vcc_lo, 5, v1
	v_cndmask_b32_e64 v1, 0, -1, vcc_lo
	v_cmp_eq_u32_e32 vcc_lo, 0, v4
	s_delay_alu instid0(VALU_DEP_2) | instskip(SKIP_3) | instid1(VALU_DEP_3)
	v_cndmask_b32_e64 v1, -1, v1, s0
	v_cndmask_b32_e32 v3, -1, v3, vcc_lo
	v_add_co_u32 v4, vcc_lo, v5, 1
	v_add_co_ci_u32_e32 v9, vcc_lo, 0, v6, vcc_lo
	v_cmp_ne_u32_e32 vcc_lo, 0, v3
	s_getpc_b64 s[0:1]
	s_add_u32 s0, s0, __const._ZN8rajaperf14hex_intsc_subzEPKdS1_iiRdS2_S2_S2_.vert_cyc@rel32@lo+4
	s_addc_u32 s1, s1, __const._ZN8rajaperf14hex_intsc_subzEPKdS1_iiRdS2_S2_S2_.vert_cyc@rel32@hi+12
	v_dual_cndmask_b32 v2, v9, v8 :: v_dual_cndmask_b32 v3, v4, v7
	v_cmp_ne_u32_e32 vcc_lo, 0, v1
	s_delay_alu instid0(VALU_DEP_2) | instskip(NEXT) | instid1(VALU_DEP_1)
	v_dual_cndmask_b32 v20, v6, v2 :: v_dual_cndmask_b32 v21, v5, v3
	v_mad_u64_u32 v[16:17], null, 0x55555555, v20, 0
	s_delay_alu instid0(VALU_DEP_2) | instskip(SKIP_1) | instid1(VALU_DEP_2)
	v_mad_u64_u32 v[1:2], null, v21, 6, 0
	v_mad_u64_u32 v[18:19], null, 0x15555555, v20, 0
	v_mad_u64_u32 v[3:4], null, v20, 6, v[2:3]
	s_delay_alu instid0(VALU_DEP_3) | instskip(NEXT) | instid1(VALU_DEP_2)
	v_sub_co_u32 v0, vcc_lo, v0, v1
	v_mov_b32_e32 v2, v3
	v_mad_u64_u32 v[14:15], null, 0x15555555, v21, 0
	v_mul_hi_u32 v22, 0x55555555, v21
	s_delay_alu instid0(VALU_DEP_3) | instskip(NEXT) | instid1(VALU_DEP_1)
	v_sub_co_ci_u32_e32 v1, vcc_lo, s29, v2, vcc_lo
	v_lshlrev_b64 v[2:3], 2, v[0:1]
	s_delay_alu instid0(VALU_DEP_1) | instskip(NEXT) | instid1(VALU_DEP_2)
	v_add_co_u32 v2, vcc_lo, v2, s0
	v_add_co_ci_u32_e32 v3, vcc_lo, s1, v3, vcc_lo
	v_cmp_gt_u64_e32 vcc_lo, 5, v[0:1]
	global_load_b32 v4, v[2:3], off
	v_cndmask_b32_e64 v0, 0xffffffec, 4, vcc_lo
	v_cndmask_b32_e64 v1, -1, 0, vcc_lo
	s_delay_alu instid0(VALU_DEP_2) | instskip(NEXT) | instid1(VALU_DEP_2)
	v_add_co_u32 v0, vcc_lo, v2, v0
	v_add_co_ci_u32_e32 v1, vcc_lo, v3, v1, vcc_lo
	global_load_b32 v0, v[0:1], off
	v_mad_u64_u32 v[2:3], null, 0xc0, v24, s[22:23]
	s_delay_alu instid0(VALU_DEP_1) | instskip(SKIP_2) | instid1(VALU_DEP_1)
	v_add_nc_u32_e32 v3, v26, v3
	s_waitcnt vmcnt(1)
	v_ashrrev_i32_e32 v5, 31, v4
	v_lshlrev_b64 v[4:5], 3, v[4:5]
	s_delay_alu instid0(VALU_DEP_1) | instskip(NEXT) | instid1(VALU_DEP_2)
	v_add_co_u32 v4, vcc_lo, v2, v4
	v_add_co_ci_u32_e32 v5, vcc_lo, v3, v5, vcc_lo
	s_waitcnt vmcnt(0)
	v_ashrrev_i32_e32 v1, 31, v0
	s_delay_alu instid0(VALU_DEP_1) | instskip(NEXT) | instid1(VALU_DEP_1)
	v_lshlrev_b64 v[0:1], 3, v[0:1]
	v_add_co_u32 v0, vcc_lo, v2, v0
	s_delay_alu instid0(VALU_DEP_2) | instskip(SKIP_2) | instid1(VALU_DEP_2)
	v_add_co_ci_u32_e32 v1, vcc_lo, v3, v1, vcc_lo
	v_add_co_u32 v14, vcc_lo, v22, v14
	v_add_co_ci_u32_e32 v15, vcc_lo, 0, v15, vcc_lo
	v_add_co_u32 v14, vcc_lo, v14, v16
	s_delay_alu instid0(VALU_DEP_2) | instskip(SKIP_1) | instid1(VALU_DEP_2)
	v_add_co_ci_u32_e32 v14, vcc_lo, v15, v17, vcc_lo
	v_add_co_ci_u32_e32 v15, vcc_lo, 0, v19, vcc_lo
	v_add_co_u32 v16, vcc_lo, v14, v18
	s_delay_alu instid0(VALU_DEP_2) | instskip(NEXT) | instid1(VALU_DEP_2)
	v_add_co_ci_u32_e32 v18, vcc_lo, 0, v15, vcc_lo
	v_mad_u64_u32 v[14:15], null, v16, 12, 0
	s_delay_alu instid0(VALU_DEP_1) | instskip(NEXT) | instid1(VALU_DEP_2)
	v_mad_u64_u32 v[16:17], null, v18, 12, v[15:16]
	v_sub_co_u32 v14, vcc_lo, v21, v14
	s_delay_alu instid0(VALU_DEP_2) | instskip(NEXT) | instid1(VALU_DEP_2)
	v_sub_co_ci_u32_e32 v15, vcc_lo, v20, v16, vcc_lo
	v_sub_co_u32 v16, vcc_lo, v14, 12
	s_delay_alu instid0(VALU_DEP_2) | instskip(NEXT) | instid1(VALU_DEP_2)
	v_subrev_co_ci_u32_e32 v17, vcc_lo, 0, v15, vcc_lo
	v_cmp_lt_u32_e32 vcc_lo, 11, v16
	v_cmp_eq_u32_e64 s0, 0, v15
	v_cndmask_b32_e64 v18, 0, -1, vcc_lo
	v_cmp_lt_u32_e32 vcc_lo, 11, v14
	v_cndmask_b32_e64 v19, 0, -1, vcc_lo
	v_cmp_eq_u32_e32 vcc_lo, 0, v17
	s_delay_alu instid0(VALU_DEP_4)
	v_cndmask_b32_e32 v18, -1, v18, vcc_lo
	s_clause 0x9
	global_load_b64 v[68:69], v[2:3], off
	global_load_b128 v[44:47], v[2:3], off offset:56
	global_load_b128 v[245:248], v[2:3], off offset:120
	global_load_b64 v[6:7], v[4:5], off
	global_load_b64 v[8:9], v[0:1], off offset:64
	global_load_b64 v[10:11], v[0:1], off offset:128
	;; [unrolled: 1-line block ×3, first 2 shown]
	global_load_b64 v[0:1], v[0:1], off
	global_load_b64 v[12:13], v[4:5], off offset:64
	global_load_b64 v[4:5], v[4:5], off offset:128
	v_sub_co_u32 v20, vcc_lo, v16, 12
	v_subrev_co_ci_u32_e32 v21, vcc_lo, 0, v17, vcc_lo
	v_cmp_ne_u32_e32 vcc_lo, 0, v18
	v_cndmask_b32_e64 v18, -1, v19, s0
	s_getpc_b64 s[0:1]
	s_add_u32 s0, s0, __const._ZN8rajaperf14hex_intsc_subzEPKdS1_iiRdS2_S2_S2_.cyc_nod@rel32@lo+4
	s_addc_u32 s1, s1, __const._ZN8rajaperf14hex_intsc_subzEPKdS1_iiRdS2_S2_S2_.cyc_nod@rel32@hi+12
	v_dual_cndmask_b32 v17, v17, v21 :: v_dual_cndmask_b32 v16, v16, v20
	v_cmp_ne_u32_e32 vcc_lo, 0, v18
	s_delay_alu instid0(VALU_DEP_2) | instskip(NEXT) | instid1(VALU_DEP_1)
	v_dual_cndmask_b32 v15, v15, v17 :: v_dual_cndmask_b32 v14, v14, v16
	v_cmp_gt_u64_e32 vcc_lo, 6, v[14:15]
	v_sub_nc_u32_e32 v16, 12, v14
	v_sub_nc_u32_e32 v15, 11, v14
	s_waitcnt vmcnt(5)
	v_add_f64 v[64:65], v[8:9], -v[46:47]
	s_waitcnt vmcnt(4)
	v_add_f64 v[8:9], v[10:11], -v[247:248]
	v_add_nc_u32_e32 v17, 1, v14
	v_add_f64 v[54:55], v[44:45], -v[68:69]
	v_add_f64 v[66:67], v[245:246], -v[46:47]
	;; [unrolled: 1-line block ×3, first 2 shown]
	s_waitcnt vmcnt(3)
	v_add_f64 v[50:51], v[2:3], -v[247:248]
	s_waitcnt vmcnt(2)
	v_add_f64 v[52:53], v[0:1], -v[68:69]
	s_waitcnt vmcnt(1)
	v_add_f64 v[60:61], v[12:13], -v[46:47]
	s_waitcnt vmcnt(0)
	v_add_f64 v[58:59], v[4:5], -v[247:248]
	v_cndmask_b32_e64 v10, 56, 0, vcc_lo
	v_dual_mov_b32 v45, v9 :: v_dual_mov_b32 v44, v8
	v_dual_cndmask_b32 v14, v16, v14 :: v_dual_cndmask_b32 v15, v15, v17
	v_mul_f64 v[22:23], v[56:57], v[66:67]
	v_mul_f64 v[0:1], v[56:57], v[64:65]
	;; [unrolled: 1-line block ×3, first 2 shown]
	s_delay_alu instid0(VALU_DEP_4)
	v_lshlrev_b32_e32 v14, 2, v14
	v_lshlrev_b32_e32 v15, 2, v15
	s_clause 0x1
	global_load_b32 v14, v14, s[0:1]
	global_load_b32 v16, v15, s[0:1]
	scratch_store_b64 off, v[24:25], off offset:3776 ; 8-byte Folded Spill
	s_mov_b32 s0, 0xe48e0530
	s_mov_b32 s1, 0x2b2bff2e
	v_mul_f64 v[36:37], v[52:53], v[50:51]
	v_mul_f64 v[2:3], v[8:9], v[22:23]
	v_mad_u64_u32 v[8:9], null, 0xc0, v24, s[20:21]
	v_mul_f64 v[24:25], v[64:65], v[54:55]
	s_delay_alu instid0(VALU_DEP_2) | instskip(SKIP_4) | instid1(VALU_DEP_4)
	v_add_nc_u32_e32 v18, v26, v9
	v_mul_f64 v[42:43], v[44:45], v[66:67]
	v_fma_f64 v[36:37], v[44:45], v[54:55], -v[36:37]
	v_fma_f64 v[6:7], v[0:1], v[50:51], -v[2:3]
	v_mul_f64 v[2:3], v[60:61], v[52:53]
	v_fma_f64 v[42:43], v[64:65], v[50:51], -v[42:43]
	s_delay_alu instid0(VALU_DEP_3) | instskip(SKIP_1) | instid1(VALU_DEP_2)
	v_fma_f64 v[4:5], v[58:59], v[4:5], v[6:7]
	v_mul_f64 v[6:7], v[60:61], v[54:55]
	v_fma_f64 v[4:5], -v[2:3], v[50:51], v[4:5]
	s_delay_alu instid0(VALU_DEP_1)
	v_fma_f64 v[4:5], v[44:45], v[6:7], v[4:5]
	v_add_co_u32 v6, vcc_lo, v8, v10
	v_add_co_ci_u32_e32 v7, vcc_lo, 0, v18, vcc_lo
	global_load_b64 v[11:12], v[6:7], off offset:64
	v_fma_f64 v[62:63], -v[58:59], v[24:25], v[4:5]
	v_fma_f64 v[24:25], v[52:53], v[66:67], -v[24:25]
	s_delay_alu instid0(VALU_DEP_2) | instskip(SKIP_4) | instid1(VALU_DEP_2)
	v_fma_f64 v[30:31], v[62:63], v[62:63], s[0:1]
	s_waitcnt vmcnt(2)
	v_ashrrev_i32_e32 v15, 31, v14
	s_waitcnt vmcnt(1)
	v_ashrrev_i32_e32 v17, 31, v16
	v_lshlrev_b64 v[9:10], 3, v[14:15]
	s_delay_alu instid0(VALU_DEP_2) | instskip(NEXT) | instid1(VALU_DEP_2)
	v_lshlrev_b64 v[13:14], 3, v[16:17]
	v_add_co_u32 v9, vcc_lo, v8, v9
	s_delay_alu instid0(VALU_DEP_3) | instskip(NEXT) | instid1(VALU_DEP_3)
	v_add_co_ci_u32_e32 v10, vcc_lo, v18, v10, vcc_lo
	v_add_co_u32 v13, vcc_lo, v8, v13
	s_delay_alu instid0(VALU_DEP_4)
	v_add_co_ci_u32_e32 v14, vcc_lo, v18, v14, vcc_lo
	s_clause 0x7
	global_load_b64 v[15:16], v[9:10], off offset:64
	global_load_b64 v[18:19], v[13:14], off offset:64
	;; [unrolled: 1-line block ×3, first 2 shown]
	global_load_b64 v[4:5], v[6:7], off
	global_load_b64 v[20:21], v[9:10], off
	;; [unrolled: 1-line block ×3, first 2 shown]
	global_load_b64 v[32:33], v[9:10], off offset:128
	global_load_b64 v[34:35], v[13:14], off offset:128
	v_div_scale_f64 v[13:14], null, v[30:31], v[30:31], v[62:63]
	v_div_scale_f64 v[38:39], vcc_lo, v[62:63], v[30:31], v[62:63]
	s_clause 0x5
	scratch_store_b64 off, v[44:45], off offset:3184
	scratch_store_b64 off, v[50:51], off offset:3704
	;; [unrolled: 1-line block ×6, first 2 shown]
	v_rcp_f64_e32 v[6:7], v[13:14]
	s_waitcnt_depctr 0xfff
	v_fma_f64 v[8:9], -v[13:14], v[6:7], 1.0
	s_delay_alu instid0(VALU_DEP_1) | instskip(NEXT) | instid1(VALU_DEP_1)
	v_fma_f64 v[6:7], v[6:7], v[8:9], v[6:7]
	v_fma_f64 v[8:9], -v[13:14], v[6:7], 1.0
	s_delay_alu instid0(VALU_DEP_1) | instskip(SKIP_4) | instid1(VALU_DEP_4)
	v_fma_f64 v[40:41], v[6:7], v[8:9], v[6:7]
	v_mul_f64 v[8:9], v[58:59], v[54:55]
	s_waitcnt vmcnt(8)
	v_add_f64 v[6:7], v[11:12], -v[46:47]
	v_dual_mov_b32 v10, v46 :: v_dual_mov_b32 v11, v47
	v_mul_f64 v[44:45], v[38:39], v[40:41]
	scratch_store_b128 off, v[8:11], off offset:3792 ; 16-byte Folded Spill
	v_fma_f64 v[48:49], v[56:57], v[50:51], -v[8:9]
	s_waitcnt vmcnt(4)
	v_add_f64 v[4:5], v[4:5], -v[68:69]
	v_add_f64 v[16:17], v[15:16], -v[46:47]
	v_add_f64 v[10:11], v[18:19], -v[46:47]
	v_mul_f64 v[46:47], v[60:61], v[50:51]
	v_mul_f64 v[50:51], v[6:7], v[36:37]
	s_waitcnt vmcnt(2)
	v_add_f64 v[8:9], v[28:29], -v[68:69]
	v_fma_f64 v[28:29], -v[13:14], v[44:45], v[38:39]
	v_add_f64 v[20:21], v[20:21], -v[68:69]
	v_add_f64 v[12:13], v[26:27], -v[247:248]
	s_waitcnt vmcnt(1)
	v_add_f64 v[18:19], v[32:33], -v[247:248]
	s_waitcnt vmcnt(0)
	v_add_f64 v[14:15], v[34:35], -v[247:248]
	v_mul_f64 v[32:33], v[6:7], v[48:49]
	v_mul_f64 v[38:39], v[16:17], v[36:37]
	;; [unrolled: 1-line block ×3, first 2 shown]
	v_fma_f64 v[26:27], v[58:59], v[66:67], -v[46:47]
	v_mul_f64 v[34:35], v[16:17], v[48:49]
	v_mul_f64 v[46:47], v[10:11], v[48:49]
	v_fma_f64 v[48:49], v[4:5], v[42:43], v[50:51]
	v_div_fmas_f64 v[28:29], v[28:29], v[40:41], v[44:45]
	v_fma_f64 v[40:41], v[60:61], v[54:55], -v[22:23]
	v_fma_f64 v[38:39], v[20:21], v[42:43], v[38:39]
	v_fma_f64 v[36:37], v[8:9], v[42:43], v[36:37]
	;; [unrolled: 1-line block ×6, first 2 shown]
	v_div_fixup_f64 v[22:23], v[28:29], v[30:31], v[62:63]
	v_fma_f64 v[28:29], v[18:19], v[24:25], v[38:39]
	v_fma_f64 v[30:31], v[14:15], v[24:25], v[36:37]
	;; [unrolled: 1-line block ×5, first 2 shown]
	v_fma_f64 v[24:25], -v[42:43], v[22:23], 1.0
	v_mul_f64 v[241:242], v[42:43], v[22:23]
	v_fma_f64 v[36:37], -v[28:29], v[22:23], 1.0
	v_fma_f64 v[38:39], -v[30:31], v[22:23], 1.0
	v_mul_f64 v[245:246], v[28:29], v[22:23]
	v_mul_f64 v[249:250], v[30:31], v[22:23]
	;; [unrolled: 1-line block ×4, first 2 shown]
	v_fma_f64 v[86:87], -v[32:33], v[22:23], v[24:25]
	v_mul_f64 v[237:238], v[26:27], v[22:23]
	v_mov_b32_e32 v33, 3
	v_dual_mov_b32 v31, 7 :: v_dual_mov_b32 v28, v236
	v_mov_b32_e32 v231, v254
	v_mov_b32_e32 v232, v254
	;; [unrolled: 1-line block ×3, first 2 shown]
	v_dual_mov_b32 v29, 5 :: v_dual_mov_b32 v32, 8
	v_mov_b32_e32 v30, 6
	v_fma_f64 v[88:89], -v[34:35], v[22:23], v[36:37]
	v_fma_f64 v[24:25], -v[26:27], v[22:23], v[38:39]
	s_clause 0x1
	scratch_store_b128 off, v[86:89], off offset:16
	scratch_store_b64 off, v[24:25], off offset:32
	v_dual_mov_b32 v26, v86 :: v_dual_mov_b32 v27, v87
	s_clause 0x3
	scratch_store_b128 off, v[252:255], off offset:56
	scratch_store_b128 off, v[29:32], off offset:72
	scratch_store_b32 off, v254, off offset:88
	scratch_store_b32 off, v33, off offset:100
	s_set_inst_prefetch_distance 0x1
	.p2align	6
.LBB0_2:                                ; =>This Inner Loop Header: Depth=1
	v_lshl_add_u32 v29, v28, 2, v228
	v_cmp_le_f64_e32 vcc_lo, 0, v[26:27]
	v_cmp_gt_f64_e64 s1, 0, v[26:27]
	scratch_load_b32 v31, v29, off
	s_waitcnt vmcnt(0)
	v_max_i32_e32 v32, 0, v31
	v_cmp_gt_i32_e64 s3, 0, v31
	s_delay_alu instid0(VALU_DEP_2)
	v_lshl_add_u32 v29, v32, 3, 16
	scratch_load_b64 v[29:30], v29, off
	s_waitcnt vmcnt(0)
	v_cmp_gt_f64_e64 s0, 0, v[29:30]
	v_cmp_le_f64_e64 s2, 0, v[29:30]
	v_dual_mov_b32 v26, v29 :: v_dual_mov_b32 v27, v30
	s_delay_alu instid0(VALU_DEP_3) | instskip(NEXT) | instid1(VALU_DEP_2)
	s_and_b32 vcc_lo, vcc_lo, s0
	s_and_b32 s0, s1, s2
	v_cndmask_b32_e32 v232, v232, v32, vcc_lo
	v_cndmask_b32_e64 v229, v229, v32, s0
	s_or_b32 s5, s3, s5
	v_cndmask_b32_e32 v254, v254, v28, vcc_lo
	v_cndmask_b32_e64 v231, v231, v28, s0
	v_mov_b32_e32 v28, v31
	s_and_not1_b32 s0, s15, exec_lo
	s_and_b32 s1, s1, exec_lo
	s_delay_alu instid0(SALU_CYCLE_1)
	s_or_b32 s15, s0, s1
	s_and_not1_b32 exec_lo, exec_lo, s5
	s_cbranch_execnz .LBB0_2
; %bb.3:
	s_set_inst_prefetch_distance 0x2
	s_or_b32 exec_lo, exec_lo, s5
	scratch_load_b64 v[30:31], off, off offset:3184 ; 8-byte Folded Reload
	v_mul_f64 v[28:29], v[58:59], v[64:65]
	v_add_f64 v[0:1], v[0:1], -v[2:3]
	v_cmp_lt_i32_e64 s0, -1, v254
	v_dual_mov_b32 v230, -1 :: v_dual_mov_b32 v233, -1
	v_mov_b32_e32 v234, -1
	s_clause 0x4
	scratch_store_b64 off, v[56:57], off offset:3728
	scratch_store_b64 off, v[64:65], off offset:3760
	;; [unrolled: 1-line block ×5, first 2 shown]
	s_waitcnt vmcnt(0)
	v_mul_f64 v[26:27], v[56:57], v[30:31]
	v_fma_f64 v[28:29], v[60:61], v[30:31], -v[28:29]
	s_delay_alu instid0(VALU_DEP_2) | instskip(NEXT) | instid1(VALU_DEP_1)
	v_fma_f64 v[26:27], v[58:59], v[52:53], -v[26:27]
	v_mul_f64 v[16:17], v[16:17], v[26:27]
	v_mul_f64 v[6:7], v[6:7], v[26:27]
	v_mul_f64 v[10:11], v[10:11], v[26:27]
	s_delay_alu instid0(VALU_DEP_3) | instskip(NEXT) | instid1(VALU_DEP_3)
	v_fma_f64 v[2:3], v[20:21], v[28:29], v[16:17]
	v_fma_f64 v[4:5], v[4:5], v[28:29], v[6:7]
	s_delay_alu instid0(VALU_DEP_3) | instskip(NEXT) | instid1(VALU_DEP_3)
	v_fma_f64 v[6:7], v[8:9], v[28:29], v[10:11]
	v_fma_f64 v[2:3], v[18:19], v[0:1], v[2:3]
	;; [unrolled: 3-line block ×3, first 2 shown]
	s_delay_alu instid0(VALU_DEP_3) | instskip(NEXT) | instid1(VALU_DEP_3)
	v_mul_f64 v[218:219], v[2:3], v[22:23]
	v_mul_f64 v[220:221], v[4:5], v[22:23]
	s_delay_alu instid0(VALU_DEP_3) | instskip(SKIP_4) | instid1(SALU_CYCLE_1)
	v_mul_f64 v[252:253], v[6:7], v[22:23]
	v_fma_f64 v[222:223], -v[4:5], v[22:23], v[86:87]
	v_fma_f64 v[226:227], -v[2:3], v[22:23], v[88:89]
	;; [unrolled: 1-line block ×3, first 2 shown]
	s_mov_b32 s16, exec_lo
                                        ; implicit-def: $vgpr2_vgpr3_vgpr4_vgpr5_vgpr6_vgpr7_vgpr8_vgpr9_vgpr10_vgpr11_vgpr12_vgpr13_vgpr14_vgpr15_vgpr16_vgpr17_vgpr18_vgpr19_vgpr20_vgpr21_vgpr22_vgpr23_vgpr24_vgpr25_vgpr26_vgpr27_vgpr28_vgpr29_vgpr30_vgpr31_vgpr32_vgpr33
                                        ; kill: killed $vgpr2_vgpr3_vgpr4_vgpr5_vgpr6_vgpr7_vgpr8_vgpr9_vgpr10_vgpr11_vgpr12_vgpr13_vgpr14_vgpr15_vgpr16_vgpr17_vgpr18_vgpr19_vgpr20_vgpr21_vgpr22_vgpr23_vgpr24_vgpr25_vgpr26_vgpr27_vgpr28_vgpr29_vgpr30_vgpr31_vgpr32_vgpr33
	s_and_b32 s1, s16, s0
                                        ; implicit-def: $vgpr0_vgpr1_vgpr2_vgpr3_vgpr4_vgpr5_vgpr6_vgpr7_vgpr8_vgpr9_vgpr10_vgpr11_vgpr12_vgpr13_vgpr14_vgpr15_vgpr16_vgpr17_vgpr18_vgpr19_vgpr20_vgpr21_vgpr22_vgpr23_vgpr24_vgpr25_vgpr26_vgpr27_vgpr28_vgpr29_vgpr30_vgpr31
                                        ; kill: killed $vgpr0_vgpr1_vgpr2_vgpr3_vgpr4_vgpr5_vgpr6_vgpr7_vgpr8_vgpr9_vgpr10_vgpr11_vgpr12_vgpr13_vgpr14_vgpr15_vgpr16_vgpr17_vgpr18_vgpr19_vgpr20_vgpr21_vgpr22_vgpr23_vgpr24_vgpr25_vgpr26_vgpr27_vgpr28_vgpr29_vgpr30_vgpr31
                                        ; implicit-def: $vgpr168_vgpr169_vgpr170_vgpr171_vgpr172_vgpr173_vgpr174_vgpr175_vgpr176_vgpr177_vgpr178_vgpr179_vgpr180_vgpr181_vgpr182_vgpr183_vgpr184_vgpr185_vgpr186_vgpr187_vgpr188_vgpr189_vgpr190_vgpr191_vgpr192_vgpr193_vgpr194_vgpr195_vgpr196_vgpr197_vgpr198_vgpr199
                                        ; implicit-def: $vgpr54_vgpr55_vgpr56_vgpr57_vgpr58_vgpr59_vgpr60_vgpr61_vgpr62_vgpr63_vgpr64_vgpr65_vgpr66_vgpr67_vgpr68_vgpr69_vgpr70_vgpr71_vgpr72_vgpr73_vgpr74_vgpr75_vgpr76_vgpr77_vgpr78_vgpr79_vgpr80_vgpr81_vgpr82_vgpr83_vgpr84_vgpr85
                                        ; implicit-def: $vgpr124_vgpr125_vgpr126_vgpr127_vgpr128_vgpr129_vgpr130_vgpr131_vgpr132_vgpr133_vgpr134_vgpr135_vgpr136_vgpr137_vgpr138_vgpr139_vgpr140_vgpr141_vgpr142_vgpr143_vgpr144_vgpr145_vgpr146_vgpr147_vgpr148_vgpr149_vgpr150_vgpr151_vgpr152_vgpr153_vgpr154_vgpr155
                                        ; implicit-def: $vgpr91_vgpr92_vgpr93_vgpr94_vgpr95_vgpr96_vgpr97_vgpr98_vgpr99_vgpr100_vgpr101_vgpr102_vgpr103_vgpr104_vgpr105_vgpr106_vgpr107_vgpr108_vgpr109_vgpr110_vgpr111_vgpr112_vgpr113_vgpr114_vgpr115_vgpr116_vgpr117_vgpr118_vgpr119_vgpr120_vgpr121_vgpr122
                                        ; implicit-def: $vgpr176_vgpr177_vgpr178_vgpr179_vgpr180_vgpr181_vgpr182_vgpr183_vgpr184_vgpr185_vgpr186_vgpr187_vgpr188_vgpr189_vgpr190_vgpr191_vgpr192_vgpr193_vgpr194_vgpr195_vgpr196_vgpr197_vgpr198_vgpr199_vgpr200_vgpr201_vgpr202_vgpr203_vgpr204_vgpr205_vgpr206_vgpr207
                                        ; implicit-def: $vgpr2_vgpr3_vgpr4_vgpr5_vgpr6_vgpr7_vgpr8_vgpr9_vgpr10_vgpr11_vgpr12_vgpr13_vgpr14_vgpr15_vgpr16_vgpr17_vgpr18_vgpr19_vgpr20_vgpr21_vgpr22_vgpr23_vgpr24_vgpr25_vgpr26_vgpr27_vgpr28_vgpr29_vgpr30_vgpr31_vgpr32_vgpr33
                                        ; kill: killed $vgpr2_vgpr3_vgpr4_vgpr5_vgpr6_vgpr7_vgpr8_vgpr9_vgpr10_vgpr11_vgpr12_vgpr13_vgpr14_vgpr15_vgpr16_vgpr17_vgpr18_vgpr19_vgpr20_vgpr21_vgpr22_vgpr23_vgpr24_vgpr25_vgpr26_vgpr27_vgpr28_vgpr29_vgpr30_vgpr31_vgpr32_vgpr33
                                        ; kill: killed $vgpr54_vgpr55_vgpr56_vgpr57_vgpr58_vgpr59_vgpr60_vgpr61_vgpr62_vgpr63_vgpr64_vgpr65_vgpr66_vgpr67_vgpr68_vgpr69_vgpr70_vgpr71_vgpr72_vgpr73_vgpr74_vgpr75_vgpr76_vgpr77_vgpr78_vgpr79_vgpr80_vgpr81_vgpr82_vgpr83_vgpr84_vgpr85
                                        ; implicit-def: $vgpr44_vgpr45_vgpr46_vgpr47_vgpr48_vgpr49_vgpr50_vgpr51_vgpr52_vgpr53_vgpr54_vgpr55_vgpr56_vgpr57_vgpr58_vgpr59_vgpr60_vgpr61_vgpr62_vgpr63_vgpr64_vgpr65_vgpr66_vgpr67_vgpr68_vgpr69_vgpr70_vgpr71_vgpr72_vgpr73_vgpr74_vgpr75
                                        ; implicit-def: $vgpr136_vgpr137_vgpr138_vgpr139_vgpr140_vgpr141_vgpr142_vgpr143_vgpr144_vgpr145_vgpr146_vgpr147_vgpr148_vgpr149_vgpr150_vgpr151_vgpr152_vgpr153_vgpr154_vgpr155_vgpr156_vgpr157_vgpr158_vgpr159_vgpr160_vgpr161_vgpr162_vgpr163_vgpr164_vgpr165_vgpr166_vgpr167
                                        ; implicit-def: $vgpr99_vgpr100_vgpr101_vgpr102_vgpr103_vgpr104_vgpr105_vgpr106_vgpr107_vgpr108_vgpr109_vgpr110_vgpr111_vgpr112_vgpr113_vgpr114_vgpr115_vgpr116_vgpr117_vgpr118_vgpr119_vgpr120_vgpr121_vgpr122_vgpr123_vgpr124_vgpr125_vgpr126_vgpr127_vgpr128_vgpr129_vgpr130
                                        ; implicit-def: $vgpr186_vgpr187_vgpr188_vgpr189_vgpr190_vgpr191_vgpr192_vgpr193_vgpr194_vgpr195_vgpr196_vgpr197_vgpr198_vgpr199_vgpr200_vgpr201_vgpr202_vgpr203_vgpr204_vgpr205_vgpr206_vgpr207_vgpr208_vgpr209_vgpr210_vgpr211_vgpr212_vgpr213_vgpr214_vgpr215_vgpr216_vgpr217
                                        ; implicit-def: $vgpr0_vgpr1_vgpr2_vgpr3_vgpr4_vgpr5_vgpr6_vgpr7_vgpr8_vgpr9_vgpr10_vgpr11_vgpr12_vgpr13_vgpr14_vgpr15_vgpr16_vgpr17_vgpr18_vgpr19_vgpr20_vgpr21_vgpr22_vgpr23_vgpr24_vgpr25_vgpr26_vgpr27_vgpr28_vgpr29_vgpr30_vgpr31
                                        ; kill: killed $vgpr0_vgpr1_vgpr2_vgpr3_vgpr4_vgpr5_vgpr6_vgpr7_vgpr8_vgpr9_vgpr10_vgpr11_vgpr12_vgpr13_vgpr14_vgpr15_vgpr16_vgpr17_vgpr18_vgpr19_vgpr20_vgpr21_vgpr22_vgpr23_vgpr24_vgpr25_vgpr26_vgpr27_vgpr28_vgpr29_vgpr30_vgpr31
                                        ; implicit-def: $vgpr54_vgpr55_vgpr56_vgpr57_vgpr58_vgpr59_vgpr60_vgpr61_vgpr62_vgpr63_vgpr64_vgpr65_vgpr66_vgpr67_vgpr68_vgpr69_vgpr70_vgpr71_vgpr72_vgpr73_vgpr74_vgpr75_vgpr76_vgpr77_vgpr78_vgpr79_vgpr80_vgpr81_vgpr82_vgpr83_vgpr84_vgpr85
                                        ; implicit-def: $vgpr2_vgpr3_vgpr4_vgpr5_vgpr6_vgpr7_vgpr8_vgpr9_vgpr10_vgpr11_vgpr12_vgpr13_vgpr14_vgpr15_vgpr16_vgpr17_vgpr18_vgpr19_vgpr20_vgpr21_vgpr22_vgpr23_vgpr24_vgpr25_vgpr26_vgpr27_vgpr28_vgpr29_vgpr30_vgpr31_vgpr32_vgpr33
                                        ; kill: killed $vgpr2_vgpr3_vgpr4_vgpr5_vgpr6_vgpr7_vgpr8_vgpr9_vgpr10_vgpr11_vgpr12_vgpr13_vgpr14_vgpr15_vgpr16_vgpr17_vgpr18_vgpr19_vgpr20_vgpr21_vgpr22_vgpr23_vgpr24_vgpr25_vgpr26_vgpr27_vgpr28_vgpr29_vgpr30_vgpr31_vgpr32_vgpr33
                                        ; implicit-def: $vgpr0_vgpr1_vgpr2_vgpr3_vgpr4_vgpr5_vgpr6_vgpr7_vgpr8_vgpr9_vgpr10_vgpr11_vgpr12_vgpr13_vgpr14_vgpr15_vgpr16_vgpr17_vgpr18_vgpr19_vgpr20_vgpr21_vgpr22_vgpr23_vgpr24_vgpr25_vgpr26_vgpr27_vgpr28_vgpr29_vgpr30_vgpr31
                                        ; kill: killed $vgpr0_vgpr1_vgpr2_vgpr3_vgpr4_vgpr5_vgpr6_vgpr7_vgpr8_vgpr9_vgpr10_vgpr11_vgpr12_vgpr13_vgpr14_vgpr15_vgpr16_vgpr17_vgpr18_vgpr19_vgpr20_vgpr21_vgpr22_vgpr23_vgpr24_vgpr25_vgpr26_vgpr27_vgpr28_vgpr29_vgpr30_vgpr31
                                        ; implicit-def: $vgpr2_vgpr3_vgpr4_vgpr5_vgpr6_vgpr7_vgpr8_vgpr9_vgpr10_vgpr11_vgpr12_vgpr13_vgpr14_vgpr15_vgpr16_vgpr17_vgpr18_vgpr19_vgpr20_vgpr21_vgpr22_vgpr23_vgpr24_vgpr25_vgpr26_vgpr27_vgpr28_vgpr29_vgpr30_vgpr31_vgpr32_vgpr33
                                        ; kill: killed $vgpr2_vgpr3_vgpr4_vgpr5_vgpr6_vgpr7_vgpr8_vgpr9_vgpr10_vgpr11_vgpr12_vgpr13_vgpr14_vgpr15_vgpr16_vgpr17_vgpr18_vgpr19_vgpr20_vgpr21_vgpr22_vgpr23_vgpr24_vgpr25_vgpr26_vgpr27_vgpr28_vgpr29_vgpr30_vgpr31_vgpr32_vgpr33
                                        ; implicit-def: $vgpr2_vgpr3_vgpr4_vgpr5_vgpr6_vgpr7_vgpr8_vgpr9_vgpr10_vgpr11_vgpr12_vgpr13_vgpr14_vgpr15_vgpr16_vgpr17_vgpr18_vgpr19_vgpr20_vgpr21_vgpr22_vgpr23_vgpr24_vgpr25_vgpr26_vgpr27_vgpr28_vgpr29_vgpr30_vgpr31_vgpr32_vgpr33
                                        ; kill: killed $vgpr2_vgpr3_vgpr4_vgpr5_vgpr6_vgpr7_vgpr8_vgpr9_vgpr10_vgpr11_vgpr12_vgpr13_vgpr14_vgpr15_vgpr16_vgpr17_vgpr18_vgpr19_vgpr20_vgpr21_vgpr22_vgpr23_vgpr24_vgpr25_vgpr26_vgpr27_vgpr28_vgpr29_vgpr30_vgpr31_vgpr32_vgpr33
                                        ; implicit-def: $vgpr2_vgpr3_vgpr4_vgpr5_vgpr6_vgpr7_vgpr8_vgpr9_vgpr10_vgpr11_vgpr12_vgpr13_vgpr14_vgpr15_vgpr16_vgpr17_vgpr18_vgpr19_vgpr20_vgpr21_vgpr22_vgpr23_vgpr24_vgpr25_vgpr26_vgpr27_vgpr28_vgpr29_vgpr30_vgpr31_vgpr32_vgpr33
                                        ; kill: killed $vgpr2_vgpr3_vgpr4_vgpr5_vgpr6_vgpr7_vgpr8_vgpr9_vgpr10_vgpr11_vgpr12_vgpr13_vgpr14_vgpr15_vgpr16_vgpr17_vgpr18_vgpr19_vgpr20_vgpr21_vgpr22_vgpr23_vgpr24_vgpr25_vgpr26_vgpr27_vgpr28_vgpr29_vgpr30_vgpr31_vgpr32_vgpr33
                                        ; implicit-def: $vgpr2_vgpr3_vgpr4_vgpr5_vgpr6_vgpr7_vgpr8_vgpr9_vgpr10_vgpr11_vgpr12_vgpr13_vgpr14_vgpr15_vgpr16_vgpr17_vgpr18_vgpr19_vgpr20_vgpr21_vgpr22_vgpr23_vgpr24_vgpr25_vgpr26_vgpr27_vgpr28_vgpr29_vgpr30_vgpr31_vgpr32_vgpr33
                                        ; kill: killed $vgpr2_vgpr3_vgpr4_vgpr5_vgpr6_vgpr7_vgpr8_vgpr9_vgpr10_vgpr11_vgpr12_vgpr13_vgpr14_vgpr15_vgpr16_vgpr17_vgpr18_vgpr19_vgpr20_vgpr21_vgpr22_vgpr23_vgpr24_vgpr25_vgpr26_vgpr27_vgpr28_vgpr29_vgpr30_vgpr31_vgpr32_vgpr33
                                        ; implicit-def: $vgpr2_vgpr3_vgpr4_vgpr5_vgpr6_vgpr7_vgpr8_vgpr9_vgpr10_vgpr11_vgpr12_vgpr13_vgpr14_vgpr15_vgpr16_vgpr17_vgpr18_vgpr19_vgpr20_vgpr21_vgpr22_vgpr23_vgpr24_vgpr25_vgpr26_vgpr27_vgpr28_vgpr29_vgpr30_vgpr31_vgpr32_vgpr33
                                        ; kill: killed $vgpr2_vgpr3_vgpr4_vgpr5_vgpr6_vgpr7_vgpr8_vgpr9_vgpr10_vgpr11_vgpr12_vgpr13_vgpr14_vgpr15_vgpr16_vgpr17_vgpr18_vgpr19_vgpr20_vgpr21_vgpr22_vgpr23_vgpr24_vgpr25_vgpr26_vgpr27_vgpr28_vgpr29_vgpr30_vgpr31_vgpr32_vgpr33
                                        ; implicit-def: $vgpr2_vgpr3_vgpr4_vgpr5_vgpr6_vgpr7_vgpr8_vgpr9_vgpr10_vgpr11_vgpr12_vgpr13_vgpr14_vgpr15_vgpr16_vgpr17_vgpr18_vgpr19_vgpr20_vgpr21_vgpr22_vgpr23_vgpr24_vgpr25_vgpr26_vgpr27_vgpr28_vgpr29_vgpr30_vgpr31_vgpr32_vgpr33
                                        ; kill: killed $vgpr2_vgpr3_vgpr4_vgpr5_vgpr6_vgpr7_vgpr8_vgpr9_vgpr10_vgpr11_vgpr12_vgpr13_vgpr14_vgpr15_vgpr16_vgpr17_vgpr18_vgpr19_vgpr20_vgpr21_vgpr22_vgpr23_vgpr24_vgpr25_vgpr26_vgpr27_vgpr28_vgpr29_vgpr30_vgpr31_vgpr32_vgpr33
                                        ; implicit-def: $vgpr2_vgpr3_vgpr4_vgpr5_vgpr6_vgpr7_vgpr8_vgpr9_vgpr10_vgpr11_vgpr12_vgpr13_vgpr14_vgpr15_vgpr16_vgpr17_vgpr18_vgpr19_vgpr20_vgpr21_vgpr22_vgpr23_vgpr24_vgpr25_vgpr26_vgpr27_vgpr28_vgpr29_vgpr30_vgpr31_vgpr32_vgpr33
                                        ; kill: killed $vgpr2_vgpr3_vgpr4_vgpr5_vgpr6_vgpr7_vgpr8_vgpr9_vgpr10_vgpr11_vgpr12_vgpr13_vgpr14_vgpr15_vgpr16_vgpr17_vgpr18_vgpr19_vgpr20_vgpr21_vgpr22_vgpr23_vgpr24_vgpr25_vgpr26_vgpr27_vgpr28_vgpr29_vgpr30_vgpr31_vgpr32_vgpr33
                                        ; implicit-def: $vgpr2_vgpr3_vgpr4_vgpr5_vgpr6_vgpr7_vgpr8_vgpr9_vgpr10_vgpr11_vgpr12_vgpr13_vgpr14_vgpr15_vgpr16_vgpr17_vgpr18_vgpr19_vgpr20_vgpr21_vgpr22_vgpr23_vgpr24_vgpr25_vgpr26_vgpr27_vgpr28_vgpr29_vgpr30_vgpr31_vgpr32_vgpr33
                                        ; kill: killed $vgpr2_vgpr3_vgpr4_vgpr5_vgpr6_vgpr7_vgpr8_vgpr9_vgpr10_vgpr11_vgpr12_vgpr13_vgpr14_vgpr15_vgpr16_vgpr17_vgpr18_vgpr19_vgpr20_vgpr21_vgpr22_vgpr23_vgpr24_vgpr25_vgpr26_vgpr27_vgpr28_vgpr29_vgpr30_vgpr31_vgpr32_vgpr33
                                        ; implicit-def: $vgpr0_vgpr1_vgpr2_vgpr3_vgpr4_vgpr5_vgpr6_vgpr7_vgpr8_vgpr9_vgpr10_vgpr11_vgpr12_vgpr13_vgpr14_vgpr15_vgpr16_vgpr17_vgpr18_vgpr19_vgpr20_vgpr21_vgpr22_vgpr23_vgpr24_vgpr25_vgpr26_vgpr27_vgpr28_vgpr29_vgpr30_vgpr31
                                        ; kill: killed $vgpr0_vgpr1_vgpr2_vgpr3_vgpr4_vgpr5_vgpr6_vgpr7_vgpr8_vgpr9_vgpr10_vgpr11_vgpr12_vgpr13_vgpr14_vgpr15_vgpr16_vgpr17_vgpr18_vgpr19_vgpr20_vgpr21_vgpr22_vgpr23_vgpr24_vgpr25_vgpr26_vgpr27_vgpr28_vgpr29_vgpr30_vgpr31
                                        ; implicit-def: $vgpr0_vgpr1_vgpr2_vgpr3_vgpr4_vgpr5_vgpr6_vgpr7_vgpr8_vgpr9_vgpr10_vgpr11_vgpr12_vgpr13_vgpr14_vgpr15_vgpr16_vgpr17_vgpr18_vgpr19_vgpr20_vgpr21_vgpr22_vgpr23_vgpr24_vgpr25_vgpr26_vgpr27_vgpr28_vgpr29_vgpr30_vgpr31
                                        ; kill: killed $vgpr0_vgpr1_vgpr2_vgpr3_vgpr4_vgpr5_vgpr6_vgpr7_vgpr8_vgpr9_vgpr10_vgpr11_vgpr12_vgpr13_vgpr14_vgpr15_vgpr16_vgpr17_vgpr18_vgpr19_vgpr20_vgpr21_vgpr22_vgpr23_vgpr24_vgpr25_vgpr26_vgpr27_vgpr28_vgpr29_vgpr30_vgpr31
	;; [unrolled: 2-line block ×4, first 2 shown]
                                        ; implicit-def: $vgpr2_vgpr3_vgpr4_vgpr5_vgpr6_vgpr7_vgpr8_vgpr9_vgpr10_vgpr11_vgpr12_vgpr13_vgpr14_vgpr15_vgpr16_vgpr17_vgpr18_vgpr19_vgpr20_vgpr21_vgpr22_vgpr23_vgpr24_vgpr25_vgpr26_vgpr27_vgpr28_vgpr29_vgpr30_vgpr31_vgpr32_vgpr33
                                        ; kill: killed $vgpr2_vgpr3_vgpr4_vgpr5_vgpr6_vgpr7_vgpr8_vgpr9_vgpr10_vgpr11_vgpr12_vgpr13_vgpr14_vgpr15_vgpr16_vgpr17_vgpr18_vgpr19_vgpr20_vgpr21_vgpr22_vgpr23_vgpr24_vgpr25_vgpr26_vgpr27_vgpr28_vgpr29_vgpr30_vgpr31_vgpr32_vgpr33
                                        ; implicit-def: $vgpr0_vgpr1_vgpr2_vgpr3_vgpr4_vgpr5_vgpr6_vgpr7_vgpr8_vgpr9_vgpr10_vgpr11_vgpr12_vgpr13_vgpr14_vgpr15_vgpr16_vgpr17_vgpr18_vgpr19_vgpr20_vgpr21_vgpr22_vgpr23_vgpr24_vgpr25_vgpr26_vgpr27_vgpr28_vgpr29_vgpr30_vgpr31
                                        ; kill: killed $vgpr0_vgpr1_vgpr2_vgpr3_vgpr4_vgpr5_vgpr6_vgpr7_vgpr8_vgpr9_vgpr10_vgpr11_vgpr12_vgpr13_vgpr14_vgpr15_vgpr16_vgpr17_vgpr18_vgpr19_vgpr20_vgpr21_vgpr22_vgpr23_vgpr24_vgpr25_vgpr26_vgpr27_vgpr28_vgpr29_vgpr30_vgpr31
                                        ; implicit-def: $vgpr0_vgpr1_vgpr2_vgpr3_vgpr4_vgpr5_vgpr6_vgpr7_vgpr8_vgpr9_vgpr10_vgpr11_vgpr12_vgpr13_vgpr14_vgpr15_vgpr16_vgpr17_vgpr18_vgpr19_vgpr20_vgpr21_vgpr22_vgpr23_vgpr24_vgpr25_vgpr26_vgpr27_vgpr28_vgpr29_vgpr30_vgpr31
                                        ; kill: killed $vgpr0_vgpr1_vgpr2_vgpr3_vgpr4_vgpr5_vgpr6_vgpr7_vgpr8_vgpr9_vgpr10_vgpr11_vgpr12_vgpr13_vgpr14_vgpr15_vgpr16_vgpr17_vgpr18_vgpr19_vgpr20_vgpr21_vgpr22_vgpr23_vgpr24_vgpr25_vgpr26_vgpr27_vgpr28_vgpr29_vgpr30_vgpr31
	;; [unrolled: 2-line block ×11, first 2 shown]
	s_delay_alu instid0(SALU_CYCLE_1)
	s_mov_b32 exec_lo, s1
	s_cbranch_execz .LBB0_5
; %bb.4:
	v_lshl_add_u32 v2, v232, 3, 16
	v_lshl_add_u32 v4, v254, 3, 16
	;; [unrolled: 1-line block ×4, first 2 shown]
	v_dual_mov_b32 v48, v245 :: v_dual_mov_b32 v49, v246
	s_clause 0x3
	scratch_load_b64 v[2:3], v2, off
	scratch_load_b64 v[4:5], v4, off
	;; [unrolled: 1-line block ×4, first 2 shown]
	v_dual_mov_b32 v50, v241 :: v_dual_mov_b32 v51, v242
	v_cmp_eq_u32_e64 s1, 1, v232
	v_mov_b32_e32 v46, v249
	v_mov_b32_e32 v56, v243
	v_cmp_eq_u32_e64 s3, 2, v254
	v_cmp_eq_u32_e64 s2, 2, v232
	v_dual_mov_b32 v52, v237 :: v_dual_mov_b32 v53, v238
	v_cmp_eq_u32_e64 s4, 1, v231
	v_cmp_eq_u32_e64 s5, 3, v232
	v_cndmask_b32_e64 v24, v50, v48, s1
	v_cndmask_b32_e64 v31, v221, v219, s1
	;; [unrolled: 1-line block ×10, first 2 shown]
	v_cmp_eq_u32_e64 s6, 4, v232
	v_cmp_eq_u32_e64 s7, 5, v232
	;; [unrolled: 1-line block ×9, first 2 shown]
	v_mov_b32_e32 v234, 4
                                        ; implicit-def: $vgpr124_vgpr125_vgpr126_vgpr127_vgpr128_vgpr129_vgpr130_vgpr131_vgpr132_vgpr133_vgpr134_vgpr135_vgpr136_vgpr137_vgpr138_vgpr139_vgpr140_vgpr141_vgpr142_vgpr143_vgpr144_vgpr145_vgpr146_vgpr147_vgpr148_vgpr149_vgpr150_vgpr151_vgpr152_vgpr153_vgpr154_vgpr155
                                        ; implicit-def: $vgpr136_vgpr137_vgpr138_vgpr139_vgpr140_vgpr141_vgpr142_vgpr143_vgpr144_vgpr145_vgpr146_vgpr147_vgpr148_vgpr149_vgpr150_vgpr151_vgpr152_vgpr153_vgpr154_vgpr155_vgpr156_vgpr157_vgpr158_vgpr159_vgpr160_vgpr161_vgpr162_vgpr163_vgpr164_vgpr165_vgpr166_vgpr167
	v_mov_b32_e32 v47, v250
	v_mov_b32_e32 v57, v244
	;; [unrolled: 1-line block ×3, first 2 shown]
	s_waitcnt vmcnt(3)
	v_add_f64 v[10:11], -v[2:3], 0
	s_waitcnt vmcnt(2)
	v_add_f64 v[12:13], v[4:5], -v[2:3]
	s_waitcnt vmcnt(1)
	v_add_f64 v[2:3], -v[6:7], 0
	s_waitcnt vmcnt(0)
	v_add_f64 v[4:5], v[8:9], -v[6:7]
	s_delay_alu instid0(VALU_DEP_3) | instskip(NEXT) | instid1(VALU_DEP_2)
	v_div_scale_f64 v[14:15], null, v[12:13], v[12:13], v[10:11]
	v_div_scale_f64 v[8:9], null, v[4:5], v[4:5], v[2:3]
	v_div_scale_f64 v[20:21], vcc_lo, v[10:11], v[12:13], v[10:11]
	s_delay_alu instid0(VALU_DEP_3) | instskip(SKIP_2) | instid1(VALU_DEP_1)
	v_rcp_f64_e32 v[16:17], v[14:15]
	s_waitcnt_depctr 0xfff
	v_fma_f64 v[18:19], -v[14:15], v[16:17], 1.0
	v_fma_f64 v[6:7], v[16:17], v[18:19], v[16:17]
	v_rcp_f64_e32 v[18:19], v[8:9]
	s_delay_alu instid0(VALU_DEP_1) | instskip(NEXT) | instid1(VALU_DEP_1)
	v_fma_f64 v[16:17], -v[14:15], v[6:7], 1.0
	v_fma_f64 v[6:7], v[6:7], v[16:17], v[6:7]
	s_waitcnt_depctr 0xfff
	v_fma_f64 v[16:17], -v[8:9], v[18:19], 1.0
	v_mul_f64 v[22:23], v[20:21], v[6:7]
	s_delay_alu instid0(VALU_DEP_2) | instskip(NEXT) | instid1(VALU_DEP_2)
	v_fma_f64 v[16:17], v[18:19], v[16:17], v[18:19]
	v_fma_f64 v[14:15], -v[14:15], v[22:23], v[20:21]
	s_delay_alu instid0(VALU_DEP_2) | instskip(SKIP_1) | instid1(VALU_DEP_3)
	v_fma_f64 v[18:19], -v[8:9], v[16:17], 1.0
	v_cndmask_b32_e64 v20, v51, v49, s4
	v_div_fmas_f64 v[6:7], v[14:15], v[6:7], v[22:23]
	v_cmp_eq_u32_e32 vcc_lo, 1, v254
	v_mov_b32_e32 v54, v239
	v_cndmask_b32_e64 v15, v51, v49, s1
	v_mov_b32_e32 v55, v240
	v_fma_f64 v[16:17], v[16:17], v[18:19], v[16:17]
	v_dual_cndmask_b32 v29, v221, v219 :: v_dual_cndmask_b32 v14, v51, v49
	v_cndmask_b32_e32 v22, v50, v48, vcc_lo
	v_cndmask_b32_e64 v23, v15, v47, s2
	v_dual_cndmask_b32 v25, v57, v55 :: v_dual_cndmask_b32 v26, v56, v54
	s_delay_alu instid0(VALU_DEP_4)
	v_cndmask_b32_e64 v21, v14, v47, s3
	v_dual_cndmask_b32 v30, v220, v218 :: v_dual_cndmask_b32 v33, v223, v227
	v_cndmask_b32_e32 v34, v222, v226, vcc_lo
	v_div_scale_f64 v[14:15], vcc_lo, v[2:3], v[4:5], v[2:3]
	v_cndmask_b32_e64 v28, v56, v54, s1
	v_cndmask_b32_e64 v39, v57, v55, s4
	;; [unrolled: 1-line block ×3, first 2 shown]
	v_cmp_eq_u32_e64 s4, 3, v254
	v_cndmask_b32_e64 v27, v57, v55, s1
	v_cmp_eq_u32_e64 s1, 2, v231
	v_cndmask_b32_e64 v18, v25, v53, s3
	v_cndmask_b32_e64 v19, v26, v52, s3
	;; [unrolled: 1-line block ×3, first 2 shown]
	s_delay_alu instid0(VALU_DEP_4)
	v_cndmask_b32_e64 v37, v20, v47, s1
	v_cndmask_b32_e64 v20, v27, v53, s2
	v_div_fixup_f64 v[6:7], v[6:7], v[12:13], v[10:11]
	v_cndmask_b32_e64 v10, v21, s0, s4
	v_cndmask_b32_e64 v11, v22, v46, s3
	;; [unrolled: 1-line block ×8, first 2 shown]
	v_cmp_eq_u32_e64 s3, 4, v254
	v_cndmask_b32_e64 v13, v24, v46, s2
	v_cndmask_b32_e64 v27, v11, s0, s4
	;; [unrolled: 1-line block ×6, first 2 shown]
	v_mul_f64 v[10:11], v[14:15], v[16:17]
	v_cndmask_b32_e64 v30, v35, v225, s2
	v_cndmask_b32_e64 v33, v18, s0, s4
	;; [unrolled: 1-line block ×21, first 2 shown]
	v_add_f64 v[12:13], -v[6:7], 1.0
	v_cndmask_b32_e64 v19, v22, s0, s10
	v_cndmask_b32_e64 v22, v23, s0, s9
	;; [unrolled: 1-line block ×9, first 2 shown]
	s_delay_alu instid0(VALU_DEP_2) | instskip(NEXT) | instid1(VALU_DEP_2)
	v_cndmask_b32_e64 v20, v20, s0, s8
	v_cndmask_b32_e64 v21, v21, s0, s8
	v_fma_f64 v[8:9], -v[8:9], v[10:11], v[14:15]
	s_delay_alu instid0(VALU_DEP_3) | instskip(NEXT) | instid1(VALU_DEP_3)
	v_cndmask_b32_e64 v25, v20, s0, s9
	v_cndmask_b32_e64 v31, v21, s0, s9
	;; [unrolled: 1-line block ×11, first 2 shown]
	s_delay_alu instid0(VALU_DEP_4) | instskip(NEXT) | instid1(VALU_DEP_4)
	v_cndmask_b32_e64 v25, v25, s0, s11
	v_cndmask_b32_e64 v26, v26, s0, s11
	s_delay_alu instid0(VALU_DEP_4) | instskip(NEXT) | instid1(VALU_DEP_4)
	v_cndmask_b32_e64 v24, v24, s0, s13
	v_cndmask_b32_e64 v27, v27, s0, s11
	;; [unrolled: 3-line block ×3, first 2 shown]
	v_mul_f64 v[14:15], v[18:19], v[12:13]
	v_mul_f64 v[18:19], v[20:21], v[12:13]
	;; [unrolled: 1-line block ×3, first 2 shown]
	v_cndmask_b32_e64 v22, v34, s0, s3
	v_cndmask_b32_e64 v23, v35, s0, s3
	;; [unrolled: 1-line block ×3, first 2 shown]
	s_delay_alu instid0(VALU_DEP_3) | instskip(NEXT) | instid1(VALU_DEP_3)
	v_cndmask_b32_e64 v22, v22, s0, s11
	v_cndmask_b32_e64 v23, v23, s0, s11
	s_delay_alu instid0(VALU_DEP_3) | instskip(NEXT) | instid1(VALU_DEP_3)
	v_cndmask_b32_e64 v32, v27, s0, s13
	v_cndmask_b32_e64 v22, v22, s0, s12
	s_delay_alu instid0(VALU_DEP_3)
	v_cndmask_b32_e64 v31, v23, s0, s12
	v_cndmask_b32_e64 v23, v24, s0, s14
	;; [unrolled: 1-line block ×5, first 2 shown]
	v_div_fmas_f64 v[10:11], v[8:9], v[16:17], v[10:11]
	v_cndmask_b32_e64 v16, v28, s0, s4
	v_cndmask_b32_e64 v22, v24, s0, s14
	;; [unrolled: 1-line block ×11, first 2 shown]
	v_cmp_eq_u32_e32 vcc_lo, 3, v231
	v_cndmask_b32_e64 v17, v17, s0, s11
	v_cmp_eq_u32_e64 s3, 6, v231
	v_cmp_eq_u32_e64 s4, 7, v231
	v_cndmask_b32_e64 v16, v16, s0, s12
	s_delay_alu instid0(VALU_DEP_4)
	v_cndmask_b32_e64 v17, v17, s0, s12
	v_fma_f64 v[192:193], v[22:23], v[6:7], v[14:15]
	v_cndmask_b32_e64 v14, v36, v224, s2
	v_cndmask_b32_e64 v15, v30, s0, s5
	v_fma_f64 v[31:32], v[24:25], v[6:7], v[18:19]
	v_cndmask_b32_e64 v16, v16, s0, s13
	v_cndmask_b32_e64 v25, v17, s0, s13
	v_cndmask_b32_e64 v14, v14, s0, s5
	v_cndmask_b32_e64 v15, v15, s0, s6
	v_fma_f64 v[174:175], v[26:27], v[6:7], v[20:21]
	v_cndmask_b32_e64 v17, v16, s0, s14
	v_cndmask_b32_e64 v16, v25, s0, s14
	;; [unrolled: 1-line block ×10, first 2 shown]
	v_div_fixup_f64 v[2:3], v[10:11], v[4:5], v[2:3]
	v_cndmask_b32_e64 v23, v43, v225, s1
	v_cndmask_b32_e64 v14, v14, s0, s8
	;; [unrolled: 1-line block ×4, first 2 shown]
	v_cmp_eq_u32_e64 s2, 5, v231
	v_cmp_eq_u32_e64 s5, 8, v231
	v_cndmask_b32_e64 v14, v14, s0, s9
	v_cndmask_b32_e64 v15, v15, s0, s10
	v_cmp_eq_u32_e64 s6, 7, v229
	v_cmp_eq_u32_e64 s7, 8, v229
	s_delay_alu instid0(VALU_DEP_4) | instskip(NEXT) | instid1(VALU_DEP_1)
	v_cndmask_b32_e64 v14, v14, s0, s10
	v_mul_f64 v[4:5], v[14:15], v[12:13]
	v_cndmask_b32_e32 v11, v18, v192, vcc_lo
	v_cndmask_b32_e64 v20, v40, v52, s1
	v_cndmask_b32_e32 v10, v37, v193, vcc_lo
	v_cmp_eq_u32_e64 s1, 4, v231
	s_delay_alu instid0(VALU_DEP_3) | instskip(SKIP_1) | instid1(VALU_DEP_3)
	v_cndmask_b32_e32 v13, v20, v31, vcc_lo
	v_cndmask_b32_e32 v15, v22, v174, vcc_lo
	v_cndmask_b32_e64 v10, v10, s0, s1
	v_cndmask_b32_e64 v11, v11, s0, s1
	s_delay_alu instid0(VALU_DEP_4)
	v_cndmask_b32_e64 v13, v13, s0, s1
	v_cndmask_b32_e32 v14, v21, v175, vcc_lo
	v_cndmask_b32_e64 v15, v15, s0, s1
	v_cndmask_b32_e64 v10, v10, s0, s2
	;; [unrolled: 1-line block ×13, first 2 shown]
	s_delay_alu instid0(VALU_DEP_4) | instskip(NEXT) | instid1(VALU_DEP_4)
	v_cndmask_b32_e64 v14, v14, s0, s3
	v_cndmask_b32_e64 v20, v15, s0, s4
	s_delay_alu instid0(VALU_DEP_4) | instskip(NEXT) | instid1(VALU_DEP_4)
	v_cndmask_b32_e64 v11, v10, s0, s5
	v_cndmask_b32_e64 v10, v18, s0, s5
	s_delay_alu instid0(VALU_DEP_4) | instskip(SKIP_3) | instid1(VALU_DEP_4)
	v_cndmask_b32_e64 v14, v14, s0, s4
	v_fma_f64 v[97:98], v[16:17], v[6:7], v[4:5]
	v_cndmask_b32_e32 v12, v19, v32, vcc_lo
	v_cndmask_b32_e64 v19, v13, s0, s4
	v_cndmask_b32_e64 v15, v14, s0, s5
	;; [unrolled: 1-line block ×3, first 2 shown]
	v_cndmask_b32_e32 v5, v24, v97, vcc_lo
	v_cndmask_b32_e64 v12, v12, s0, s1
	v_cndmask_b32_e32 v4, v23, v98, vcc_lo
	v_cmp_eq_u32_e32 vcc_lo, 1, v229
	s_delay_alu instid0(VALU_DEP_4) | instskip(NEXT) | instid1(VALU_DEP_4)
	v_cndmask_b32_e64 v5, v5, s0, s1
	v_cndmask_b32_e64 v12, v12, s0, s2
	v_cndmask_b32_e32 v17, v56, v54, vcc_lo
	s_delay_alu instid0(VALU_DEP_3) | instskip(NEXT) | instid1(VALU_DEP_3)
	v_cndmask_b32_e64 v5, v5, s0, s2
	v_cndmask_b32_e64 v12, v12, s0, s3
	s_delay_alu instid0(VALU_DEP_2) | instskip(NEXT) | instid1(VALU_DEP_2)
	v_cndmask_b32_e64 v5, v5, s0, s3
	v_cndmask_b32_e64 v12, v12, s0, s4
	s_delay_alu instid0(VALU_DEP_2) | instskip(NEXT) | instid1(VALU_DEP_2)
	v_cndmask_b32_e64 v6, v5, s0, s4
	v_cndmask_b32_e64 v13, v12, s0, s5
	;; [unrolled: 1-line block ×3, first 2 shown]
	v_dual_mov_b32 v18, v31 :: v_dual_mov_b32 v19, v32
	v_cndmask_b32_e64 v4, v4, s0, s1
	v_cmp_eq_u32_e64 s1, 2, v229
	s_delay_alu instid0(VALU_DEP_2) | instskip(SKIP_1) | instid1(VALU_DEP_3)
	v_cndmask_b32_e64 v4, v4, s0, s2
	v_cmp_eq_u32_e64 s2, 3, v229
	v_cndmask_b32_e64 v17, v17, v52, s1
	s_delay_alu instid0(VALU_DEP_3) | instskip(SKIP_1) | instid1(VALU_DEP_2)
	v_cndmask_b32_e64 v4, v4, s0, s3
	v_cmp_eq_u32_e64 s3, 4, v229
	v_cndmask_b32_e64 v4, v4, s0, s4
	v_cmp_eq_u32_e64 s4, 5, v229
	s_delay_alu instid0(VALU_DEP_2) | instskip(SKIP_3) | instid1(VALU_DEP_2)
	v_cndmask_b32_e64 v5, v4, s0, s5
	v_cndmask_b32_e64 v4, v6, s0, s5
	v_add_f64 v[6:7], -v[2:3], 1.0
	v_cmp_eq_u32_e64 s5, 6, v229
	v_mul_f64 v[10:11], v[6:7], v[10:11]
	v_mul_f64 v[12:13], v[6:7], v[12:13]
	;; [unrolled: 1-line block ×4, first 2 shown]
	v_dual_mov_b32 v6, 5 :: v_dual_cndmask_b32 v7, v50, v48
	scratch_store_b32 off, v6, off offset:100
	v_cndmask_b32_e32 v6, v51, v49, vcc_lo
	v_cndmask_b32_e64 v7, v7, v46, s1
	s_delay_alu instid0(VALU_DEP_2) | instskip(NEXT) | instid1(VALU_DEP_2)
	v_cndmask_b32_e64 v6, v6, v47, s1
	v_cndmask_b32_e64 v7, v7, v192, s2
	s_delay_alu instid0(VALU_DEP_2) | instskip(NEXT) | instid1(VALU_DEP_2)
	v_cndmask_b32_e64 v6, v6, v193, s2
	;; [unrolled: 3-line block ×5, first 2 shown]
	v_cndmask_b32_e64 v16, v7, s0, s6
	s_delay_alu instid0(VALU_DEP_2) | instskip(NEXT) | instid1(VALU_DEP_1)
	v_cndmask_b32_e64 v6, v6, s0, s6
	v_cndmask_b32_e64 v7, v6, s0, s7
	s_delay_alu instid0(VALU_DEP_3) | instskip(SKIP_1) | instid1(VALU_DEP_2)
	v_cndmask_b32_e64 v6, v16, s0, s7
	v_cndmask_b32_e32 v16, v57, v55, vcc_lo
	v_fma_f64 v[62:63], v[2:3], v[6:7], v[10:11]
	s_delay_alu instid0(VALU_DEP_2) | instskip(NEXT) | instid1(VALU_DEP_1)
	v_cndmask_b32_e64 v16, v16, v53, s1
	v_cndmask_b32_e64 v16, v16, v32, s2
	s_clause 0x7
	scratch_store_b128 off, v[12:15], off offset:880
	scratch_store_b128 off, v[16:19], off offset:896
	;; [unrolled: 1-line block ×8, first 2 shown]
	v_cndmask_b32_e32 v21, v222, v226, vcc_lo
	v_cndmask_b32_e32 v19, v220, v218, vcc_lo
	s_delay_alu instid0(VALU_DEP_2) | instskip(NEXT) | instid1(VALU_DEP_2)
	v_cndmask_b32_e64 v21, v21, v224, s1
	v_cndmask_b32_e64 v19, v19, v252, s1
	s_delay_alu instid0(VALU_DEP_2) | instskip(NEXT) | instid1(VALU_DEP_2)
	v_cndmask_b32_e64 v21, v21, v97, s2
	v_cndmask_b32_e64 v19, v19, v174, s2
	;; [unrolled: 3-line block ×6, first 2 shown]
	v_cndmask_b32_e64 v17, v17, v31, s2
	v_cndmask_b32_e64 v16, v16, s0, s3
	s_delay_alu instid0(VALU_DEP_2) | instskip(NEXT) | instid1(VALU_DEP_2)
	v_cndmask_b32_e64 v17, v17, s0, s3
	v_cndmask_b32_e64 v16, v16, s0, s4
	s_delay_alu instid0(VALU_DEP_2) | instskip(NEXT) | instid1(VALU_DEP_2)
	;; [unrolled: 3-line block ×4, first 2 shown]
	v_cndmask_b32_e64 v18, v17, s0, s6
	v_cndmask_b32_e64 v17, v16, s0, s7
	s_delay_alu instid0(VALU_DEP_2) | instskip(SKIP_1) | instid1(VALU_DEP_2)
	v_cndmask_b32_e64 v16, v18, s0, s7
	v_cndmask_b32_e32 v18, v221, v219, vcc_lo
	v_fma_f64 v[52:53], v[2:3], v[16:17], v[12:13]
	s_delay_alu instid0(VALU_DEP_2) | instskip(NEXT) | instid1(VALU_DEP_1)
	v_cndmask_b32_e64 v18, v18, v253, s1
	v_cndmask_b32_e64 v18, v18, v175, s2
	s_delay_alu instid0(VALU_DEP_1) | instskip(NEXT) | instid1(VALU_DEP_1)
	v_cndmask_b32_e64 v18, v18, s0, s3
	v_cndmask_b32_e64 v18, v18, s0, s4
	s_delay_alu instid0(VALU_DEP_1) | instskip(NEXT) | instid1(VALU_DEP_1)
	v_cndmask_b32_e64 v18, v18, s0, s5
	v_cndmask_b32_e64 v18, v18, s0, s6
	s_delay_alu instid0(VALU_DEP_1) | instskip(SKIP_2) | instid1(VALU_DEP_2)
	v_cndmask_b32_e64 v19, v18, s0, s7
	v_cndmask_b32_e64 v18, v20, s0, s7
	v_cndmask_b32_e32 v20, v223, v227, vcc_lo
	v_fma_f64 v[184:185], v[2:3], v[18:19], v[14:15]
	s_delay_alu instid0(VALU_DEP_2) | instskip(NEXT) | instid1(VALU_DEP_1)
	v_cndmask_b32_e64 v20, v20, v225, s1
	v_cndmask_b32_e64 v20, v20, v98, s2
	s_delay_alu instid0(VALU_DEP_1) | instskip(NEXT) | instid1(VALU_DEP_1)
	v_cndmask_b32_e64 v20, v20, s0, s3
	v_cndmask_b32_e64 v20, v20, s0, s4
	s_delay_alu instid0(VALU_DEP_1) | instskip(NEXT) | instid1(VALU_DEP_1)
	v_cndmask_b32_e64 v20, v20, s0, s5
	v_cndmask_b32_e64 v20, v20, s0, s6
	s_delay_alu instid0(VALU_DEP_1) | instskip(SKIP_1) | instid1(VALU_DEP_1)
	v_cndmask_b32_e64 v21, v20, s0, s7
	v_cndmask_b32_e64 v20, v22, s0, s7
	v_fma_f64 v[107:108], v[2:3], v[20:21], v[4:5]
                                        ; implicit-def: $vgpr2_vgpr3_vgpr4_vgpr5_vgpr6_vgpr7_vgpr8_vgpr9_vgpr10_vgpr11_vgpr12_vgpr13_vgpr14_vgpr15_vgpr16_vgpr17_vgpr18_vgpr19_vgpr20_vgpr21_vgpr22_vgpr23_vgpr24_vgpr25_vgpr26_vgpr27_vgpr28_vgpr29_vgpr30_vgpr31_vgpr32_vgpr33
                                        ; kill: killed $vgpr2_vgpr3_vgpr4_vgpr5_vgpr6_vgpr7_vgpr8_vgpr9_vgpr10_vgpr11_vgpr12_vgpr13_vgpr14_vgpr15_vgpr16_vgpr17_vgpr18_vgpr19_vgpr20_vgpr21_vgpr22_vgpr23_vgpr24_vgpr25_vgpr26_vgpr27_vgpr28_vgpr29_vgpr30_vgpr31_vgpr32_vgpr33
                                        ; implicit-def: $vgpr0_vgpr1_vgpr2_vgpr3_vgpr4_vgpr5_vgpr6_vgpr7_vgpr8_vgpr9_vgpr10_vgpr11_vgpr12_vgpr13_vgpr14_vgpr15_vgpr16_vgpr17_vgpr18_vgpr19_vgpr20_vgpr21_vgpr22_vgpr23_vgpr24_vgpr25_vgpr26_vgpr27_vgpr28_vgpr29_vgpr30_vgpr31
                                        ; kill: killed $vgpr0_vgpr1_vgpr2_vgpr3_vgpr4_vgpr5_vgpr6_vgpr7_vgpr8_vgpr9_vgpr10_vgpr11_vgpr12_vgpr13_vgpr14_vgpr15_vgpr16_vgpr17_vgpr18_vgpr19_vgpr20_vgpr21_vgpr22_vgpr23_vgpr24_vgpr25_vgpr26_vgpr27_vgpr28_vgpr29_vgpr30_vgpr31
                                        ; implicit-def: $vgpr2_vgpr3_vgpr4_vgpr5_vgpr6_vgpr7_vgpr8_vgpr9_vgpr10_vgpr11_vgpr12_vgpr13_vgpr14_vgpr15_vgpr16_vgpr17_vgpr18_vgpr19_vgpr20_vgpr21_vgpr22_vgpr23_vgpr24_vgpr25_vgpr26_vgpr27_vgpr28_vgpr29_vgpr30_vgpr31_vgpr32_vgpr33
                                        ; kill: killed $vgpr2_vgpr3_vgpr4_vgpr5_vgpr6_vgpr7_vgpr8_vgpr9_vgpr10_vgpr11_vgpr12_vgpr13_vgpr14_vgpr15_vgpr16_vgpr17_vgpr18_vgpr19_vgpr20_vgpr21_vgpr22_vgpr23_vgpr24_vgpr25_vgpr26_vgpr27_vgpr28_vgpr29_vgpr30_vgpr31_vgpr32_vgpr33
                                        ; implicit-def: $vgpr0_vgpr1_vgpr2_vgpr3_vgpr4_vgpr5_vgpr6_vgpr7_vgpr8_vgpr9_vgpr10_vgpr11_vgpr12_vgpr13_vgpr14_vgpr15_vgpr16_vgpr17_vgpr18_vgpr19_vgpr20_vgpr21_vgpr22_vgpr23_vgpr24_vgpr25_vgpr26_vgpr27_vgpr28_vgpr29_vgpr30_vgpr31
                                        ; kill: killed $vgpr0_vgpr1_vgpr2_vgpr3_vgpr4_vgpr5_vgpr6_vgpr7_vgpr8_vgpr9_vgpr10_vgpr11_vgpr12_vgpr13_vgpr14_vgpr15_vgpr16_vgpr17_vgpr18_vgpr19_vgpr20_vgpr21_vgpr22_vgpr23_vgpr24_vgpr25_vgpr26_vgpr27_vgpr28_vgpr29_vgpr30_vgpr31
	;; [unrolled: 4-line block ×3, first 2 shown]
                                        ; implicit-def: $vgpr20_vgpr21_vgpr22_vgpr23_vgpr24_vgpr25_vgpr26_vgpr27_vgpr28_vgpr29_vgpr30_vgpr31_vgpr32_vgpr33_vgpr34_vgpr35_vgpr36_vgpr37_vgpr38_vgpr39_vgpr40_vgpr41_vgpr42_vgpr43_vgpr44_vgpr45_vgpr46_vgpr47_vgpr48_vgpr49_vgpr50_vgpr51
                                        ; kill: killed $vgpr20_vgpr21_vgpr22_vgpr23_vgpr24_vgpr25_vgpr26_vgpr27_vgpr28_vgpr29_vgpr30_vgpr31_vgpr32_vgpr33_vgpr34_vgpr35_vgpr36_vgpr37_vgpr38_vgpr39_vgpr40_vgpr41_vgpr42_vgpr43_vgpr44_vgpr45_vgpr46_vgpr47_vgpr48_vgpr49_vgpr50_vgpr51
                                        ; implicit-def: $vgpr20_vgpr21_vgpr22_vgpr23_vgpr24_vgpr25_vgpr26_vgpr27_vgpr28_vgpr29_vgpr30_vgpr31_vgpr32_vgpr33_vgpr34_vgpr35_vgpr36_vgpr37_vgpr38_vgpr39_vgpr40_vgpr41_vgpr42_vgpr43_vgpr44_vgpr45_vgpr46_vgpr47_vgpr48_vgpr49_vgpr50_vgpr51
                                        ; kill: killed $vgpr20_vgpr21_vgpr22_vgpr23_vgpr24_vgpr25_vgpr26_vgpr27_vgpr28_vgpr29_vgpr30_vgpr31_vgpr32_vgpr33_vgpr34_vgpr35_vgpr36_vgpr37_vgpr38_vgpr39_vgpr40_vgpr41_vgpr42_vgpr43_vgpr44_vgpr45_vgpr46_vgpr47_vgpr48_vgpr49_vgpr50_vgpr51
	;; [unrolled: 2-line block ×3, first 2 shown]
                                        ; implicit-def: $vgpr2_vgpr3_vgpr4_vgpr5_vgpr6_vgpr7_vgpr8_vgpr9_vgpr10_vgpr11_vgpr12_vgpr13_vgpr14_vgpr15_vgpr16_vgpr17_vgpr18_vgpr19_vgpr20_vgpr21_vgpr22_vgpr23_vgpr24_vgpr25_vgpr26_vgpr27_vgpr28_vgpr29_vgpr30_vgpr31_vgpr32_vgpr33
                                        ; kill: killed $vgpr2_vgpr3_vgpr4_vgpr5_vgpr6_vgpr7_vgpr8_vgpr9_vgpr10_vgpr11_vgpr12_vgpr13_vgpr14_vgpr15_vgpr16_vgpr17_vgpr18_vgpr19_vgpr20_vgpr21_vgpr22_vgpr23_vgpr24_vgpr25_vgpr26_vgpr27_vgpr28_vgpr29_vgpr30_vgpr31_vgpr32_vgpr33
                                        ; implicit-def: $vgpr20_vgpr21_vgpr22_vgpr23_vgpr24_vgpr25_vgpr26_vgpr27_vgpr28_vgpr29_vgpr30_vgpr31_vgpr32_vgpr33_vgpr34_vgpr35_vgpr36_vgpr37_vgpr38_vgpr39_vgpr40_vgpr41_vgpr42_vgpr43_vgpr44_vgpr45_vgpr46_vgpr47_vgpr48_vgpr49_vgpr50_vgpr51
                                        ; kill: killed $vgpr20_vgpr21_vgpr22_vgpr23_vgpr24_vgpr25_vgpr26_vgpr27_vgpr28_vgpr29_vgpr30_vgpr31_vgpr32_vgpr33_vgpr34_vgpr35_vgpr36_vgpr37_vgpr38_vgpr39_vgpr40_vgpr41_vgpr42_vgpr43_vgpr44_vgpr45_vgpr46_vgpr47_vgpr48_vgpr49_vgpr50_vgpr51
                                        ; implicit-def: $vgpr2_vgpr3_vgpr4_vgpr5_vgpr6_vgpr7_vgpr8_vgpr9_vgpr10_vgpr11_vgpr12_vgpr13_vgpr14_vgpr15_vgpr16_vgpr17_vgpr18_vgpr19_vgpr20_vgpr21_vgpr22_vgpr23_vgpr24_vgpr25_vgpr26_vgpr27_vgpr28_vgpr29_vgpr30_vgpr31_vgpr32_vgpr33
                                        ; kill: killed $vgpr2_vgpr3_vgpr4_vgpr5_vgpr6_vgpr7_vgpr8_vgpr9_vgpr10_vgpr11_vgpr12_vgpr13_vgpr14_vgpr15_vgpr16_vgpr17_vgpr18_vgpr19_vgpr20_vgpr21_vgpr22_vgpr23_vgpr24_vgpr25_vgpr26_vgpr27_vgpr28_vgpr29_vgpr30_vgpr31_vgpr32_vgpr33
                                        ; implicit-def: $vgpr20_vgpr21_vgpr22_vgpr23_vgpr24_vgpr25_vgpr26_vgpr27_vgpr28_vgpr29_vgpr30_vgpr31_vgpr32_vgpr33_vgpr34_vgpr35_vgpr36_vgpr37_vgpr38_vgpr39_vgpr40_vgpr41_vgpr42_vgpr43_vgpr44_vgpr45_vgpr46_vgpr47_vgpr48_vgpr49_vgpr50_vgpr51
                                        ; kill: killed $vgpr20_vgpr21_vgpr22_vgpr23_vgpr24_vgpr25_vgpr26_vgpr27_vgpr28_vgpr29_vgpr30_vgpr31_vgpr32_vgpr33_vgpr34_vgpr35_vgpr36_vgpr37_vgpr38_vgpr39_vgpr40_vgpr41_vgpr42_vgpr43_vgpr44_vgpr45_vgpr46_vgpr47_vgpr48_vgpr49_vgpr50_vgpr51
                                        ; implicit-def: $vgpr2_vgpr3_vgpr4_vgpr5_vgpr6_vgpr7_vgpr8_vgpr9_vgpr10_vgpr11_vgpr12_vgpr13_vgpr14_vgpr15_vgpr16_vgpr17_vgpr18_vgpr19_vgpr20_vgpr21_vgpr22_vgpr23_vgpr24_vgpr25_vgpr26_vgpr27_vgpr28_vgpr29_vgpr30_vgpr31_vgpr32_vgpr33
                                        ; kill: killed $vgpr2_vgpr3_vgpr4_vgpr5_vgpr6_vgpr7_vgpr8_vgpr9_vgpr10_vgpr11_vgpr12_vgpr13_vgpr14_vgpr15_vgpr16_vgpr17_vgpr18_vgpr19_vgpr20_vgpr21_vgpr22_vgpr23_vgpr24_vgpr25_vgpr26_vgpr27_vgpr28_vgpr29_vgpr30_vgpr31_vgpr32_vgpr33
                                        ; implicit-def: $vgpr0_vgpr1_vgpr2_vgpr3_vgpr4_vgpr5_vgpr6_vgpr7_vgpr8_vgpr9_vgpr10_vgpr11_vgpr12_vgpr13_vgpr14_vgpr15_vgpr16_vgpr17_vgpr18_vgpr19_vgpr20_vgpr21_vgpr22_vgpr23_vgpr24_vgpr25_vgpr26_vgpr27_vgpr28_vgpr29_vgpr30_vgpr31
                                        ; kill: killed $vgpr0_vgpr1_vgpr2_vgpr3_vgpr4_vgpr5_vgpr6_vgpr7_vgpr8_vgpr9_vgpr10_vgpr11_vgpr12_vgpr13_vgpr14_vgpr15_vgpr16_vgpr17_vgpr18_vgpr19_vgpr20_vgpr21_vgpr22_vgpr23_vgpr24_vgpr25_vgpr26_vgpr27_vgpr28_vgpr29_vgpr30_vgpr31
                                        ; implicit-def: $vgpr0_vgpr1_vgpr2_vgpr3_vgpr4_vgpr5_vgpr6_vgpr7_vgpr8_vgpr9_vgpr10_vgpr11_vgpr12_vgpr13_vgpr14_vgpr15_vgpr16_vgpr17_vgpr18_vgpr19_vgpr20_vgpr21_vgpr22_vgpr23_vgpr24_vgpr25_vgpr26_vgpr27_vgpr28_vgpr29_vgpr30_vgpr31
                                        ; kill: killed $vgpr0_vgpr1_vgpr2_vgpr3_vgpr4_vgpr5_vgpr6_vgpr7_vgpr8_vgpr9_vgpr10_vgpr11_vgpr12_vgpr13_vgpr14_vgpr15_vgpr16_vgpr17_vgpr18_vgpr19_vgpr20_vgpr21_vgpr22_vgpr23_vgpr24_vgpr25_vgpr26_vgpr27_vgpr28_vgpr29_vgpr30_vgpr31
	;; [unrolled: 2-line block ×4, first 2 shown]
                                        ; implicit-def: $vgpr2_vgpr3_vgpr4_vgpr5_vgpr6_vgpr7_vgpr8_vgpr9_vgpr10_vgpr11_vgpr12_vgpr13_vgpr14_vgpr15_vgpr16_vgpr17_vgpr18_vgpr19_vgpr20_vgpr21_vgpr22_vgpr23_vgpr24_vgpr25_vgpr26_vgpr27_vgpr28_vgpr29_vgpr30_vgpr31_vgpr32_vgpr33
                                        ; kill: killed $vgpr2_vgpr3_vgpr4_vgpr5_vgpr6_vgpr7_vgpr8_vgpr9_vgpr10_vgpr11_vgpr12_vgpr13_vgpr14_vgpr15_vgpr16_vgpr17_vgpr18_vgpr19_vgpr20_vgpr21_vgpr22_vgpr23_vgpr24_vgpr25_vgpr26_vgpr27_vgpr28_vgpr29_vgpr30_vgpr31_vgpr32_vgpr33
                                        ; implicit-def: $vgpr0_vgpr1_vgpr2_vgpr3_vgpr4_vgpr5_vgpr6_vgpr7_vgpr8_vgpr9_vgpr10_vgpr11_vgpr12_vgpr13_vgpr14_vgpr15_vgpr16_vgpr17_vgpr18_vgpr19_vgpr20_vgpr21_vgpr22_vgpr23_vgpr24_vgpr25_vgpr26_vgpr27_vgpr28_vgpr29_vgpr30_vgpr31
                                        ; kill: killed $vgpr0_vgpr1_vgpr2_vgpr3_vgpr4_vgpr5_vgpr6_vgpr7_vgpr8_vgpr9_vgpr10_vgpr11_vgpr12_vgpr13_vgpr14_vgpr15_vgpr16_vgpr17_vgpr18_vgpr19_vgpr20_vgpr21_vgpr22_vgpr23_vgpr24_vgpr25_vgpr26_vgpr27_vgpr28_vgpr29_vgpr30_vgpr31
                                        ; implicit-def: $vgpr0_vgpr1_vgpr2_vgpr3_vgpr4_vgpr5_vgpr6_vgpr7_vgpr8_vgpr9_vgpr10_vgpr11_vgpr12_vgpr13_vgpr14_vgpr15_vgpr16_vgpr17_vgpr18_vgpr19_vgpr20_vgpr21_vgpr22_vgpr23_vgpr24_vgpr25_vgpr26_vgpr27_vgpr28_vgpr29_vgpr30_vgpr31
                                        ; kill: killed $vgpr0_vgpr1_vgpr2_vgpr3_vgpr4_vgpr5_vgpr6_vgpr7_vgpr8_vgpr9_vgpr10_vgpr11_vgpr12_vgpr13_vgpr14_vgpr15_vgpr16_vgpr17_vgpr18_vgpr19_vgpr20_vgpr21_vgpr22_vgpr23_vgpr24_vgpr25_vgpr26_vgpr27_vgpr28_vgpr29_vgpr30_vgpr31
	;; [unrolled: 2-line block ×11, first 2 shown]
.LBB0_5:
	s_or_b32 exec_lo, exec_lo, s16
	scratch_store_b32 off, v230, off offset:96
	s_clause 0x7
	scratch_load_b128 v[3:6], off, off offset:3808
	scratch_load_b128 v[7:10], off, off offset:3824
	;; [unrolled: 1-line block ×8, first 2 shown]
	s_movk_i32 s2, 0xfe0
	s_mov_b32 s1, 0
	s_waitcnt vmcnt(4)
	v_mov_b32_e32 v92, v17
	s_clause 0x7
	scratch_load_b128 v[3:6], off, off offset:3936
	scratch_load_b128 v[7:10], off, off offset:3952
	;; [unrolled: 1-line block ×8, first 2 shown]
	s_waitcnt vmcnt(4)
	v_dual_mov_b32 v2, 0 :: v_dual_mov_b32 v95, v15
	s_clause 0x7
	scratch_load_b128 v[3:6], off, s2
	scratch_load_b128 v[7:10], off, s2 offset:16
	scratch_load_b128 v[11:14], off, s2 offset:32
	;; [unrolled: 1-line block ×7, first 2 shown]
	s_waitcnt vmcnt(5)
	v_mov_b32_e32 v96, v13
	s_set_inst_prefetch_distance 0x1
	s_branch .LBB0_7
	.p2align	6
.LBB0_6:                                ;   in Loop: Header=BB0_7 Depth=1
	s_or_b32 exec_lo, exec_lo, s3
	s_waitcnt vmcnt(0)
	v_cmp_gt_i32_e32 vcc_lo, 0, v3
	v_mov_b32_e32 v2, v3
	s_or_b32 s1, vcc_lo, s1
	s_delay_alu instid0(SALU_CYCLE_1)
	s_and_not1_b32 exec_lo, exec_lo, s1
	s_cbranch_execz .LBB0_13
.LBB0_7:                                ; =>This Inner Loop Header: Depth=1
	s_delay_alu instid0(VALU_DEP_1) | instskip(SKIP_2) | instid1(VALU_DEP_1)
	v_lshlrev_b32_e32 v3, 2, v2
	s_mov_b32 s2, 0
	s_mov_b32 s3, exec_lo
                                        ; implicit-def: $vgpr4
	v_add_nc_u32_e32 v5, 16, v3
	s_delay_alu instid0(VALU_DEP_1)
	v_add_nc_u32_e32 v3, v5, v3
	s_clause 0x1
	scratch_load_b64 v[6:7], v3, off
	scratch_load_b32 v3, v5, off offset:40
	s_waitcnt vmcnt(1)
	v_cmpx_ngt_f64_e32 0, v[6:7]
	s_xor_b32 s3, exec_lo, s3
	s_cbranch_execnz .LBB0_10
; %bb.8:                                ;   in Loop: Header=BB0_7 Depth=1
	s_and_not1_saveexec_b32 s3, s3
	s_cbranch_execnz .LBB0_11
.LBB0_9:                                ;   in Loop: Header=BB0_7 Depth=1
	s_or_b32 exec_lo, exec_lo, s3
	s_and_saveexec_b32 s3, s2
	s_cbranch_execz .LBB0_6
	s_branch .LBB0_12
.LBB0_10:                               ;   in Loop: Header=BB0_7 Depth=1
	scratch_load_b32 v4, off, off offset:96
                                        ; implicit-def: $vgpr5
	s_waitcnt vmcnt(0)
	v_cmp_eq_u32_e32 vcc_lo, -1, v4
	v_mov_b32_e32 v4, 0x60
	s_and_b32 s2, vcc_lo, exec_lo
	s_and_not1_saveexec_b32 s3, s3
	s_cbranch_execz .LBB0_9
.LBB0_11:                               ;   in Loop: Header=BB0_7 Depth=1
	scratch_load_b32 v6, off, off offset:100
	v_mov_b32_e32 v4, 0x64
	s_or_b32 s2, s2, exec_lo
	s_waitcnt vmcnt(0)
	scratch_store_b32 v5, v6, off offset:40
	s_or_b32 exec_lo, exec_lo, s3
	s_and_saveexec_b32 s3, s2
	s_cbranch_execz .LBB0_6
.LBB0_12:                               ;   in Loop: Header=BB0_7 Depth=1
	scratch_store_b32 v4, v2, off
	s_branch .LBB0_6
.LBB0_13:
	s_set_inst_prefetch_distance 0x2
	s_or_b32 exec_lo, exec_lo, s1
	s_and_saveexec_b32 s1, s0
; %bb.14:
	v_cmp_gt_f64_e32 vcc_lo, 0, v[86:87]
	v_lshlrev_b32_e32 v2, 2, v254
	v_lshlrev_b32_e32 v3, 2, v233
	;; [unrolled: 1-line block ×3, first 2 shown]
	s_delay_alu instid0(VALU_DEP_3) | instskip(NEXT) | instid1(VALU_DEP_3)
	v_add3_u32 v2, 16, v2, 40
	v_add3_u32 v3, 16, v3, 40
	s_delay_alu instid0(VALU_DEP_3) | instskip(SKIP_1) | instid1(SALU_CYCLE_1)
	v_add3_u32 v4, 16, v4, 40
	s_or_b32 s0, s15, vcc_lo
	v_cndmask_b32_e64 v5, v229, -1, s0
	s_clause 0x2
	scratch_store_b32 v2, v233, off
	scratch_store_b32 v3, v234, off
	;; [unrolled: 1-line block ×3, first 2 shown]
; %bb.15:
	s_or_b32 exec_lo, exec_lo, s1
	s_clause 0x8
	scratch_load_b32 v124, off, off offset:96
	scratch_load_b128 v[4:7], off, off offset:2160
	scratch_load_b128 v[8:11], off, off offset:2176
	;; [unrolled: 1-line block ×8, first 2 shown]
	v_mov_b32_e32 v0, -1
	v_dual_mov_b32 v1, -1 :: v_dual_mov_b32 v138, 0
	v_dual_mov_b32 v125, -1 :: v_dual_mov_b32 v126, -1
	s_delay_alu instid0(VALU_DEP_2) | instskip(NEXT) | instid1(VALU_DEP_4)
	v_dual_mov_b32 v139, 0 :: v_dual_mov_b32 v60, v1
	v_mov_b32_e32 v59, v0
	s_waitcnt vmcnt(8)
	v_cmp_eq_u32_e32 vcc_lo, 1, v124
	v_cmp_eq_u32_e64 s0, 2, v124
	v_dual_cndmask_b32 v2, v242, v246 :: v_dual_cndmask_b32 v3, v241, v245
	v_cmp_eq_u32_e32 vcc_lo, 3, v124
	s_delay_alu instid0(VALU_DEP_2) | instskip(NEXT) | instid1(VALU_DEP_3)
	v_cndmask_b32_e64 v2, v2, v250, s0
	v_cndmask_b32_e64 v3, v3, v249, s0
	v_cmp_lt_i32_e64 s0, -1, v124
	s_delay_alu instid0(VALU_DEP_2) | instskip(SKIP_1) | instid1(VALU_DEP_2)
	v_dual_cndmask_b32 v2, v2, v193 :: v_dual_cndmask_b32 v3, v3, v192
	v_cmp_eq_u32_e32 vcc_lo, 4, v124
	v_dual_cndmask_b32 v2, v2, v63 :: v_dual_cndmask_b32 v3, v3, v62
	v_cmp_eq_u32_e32 vcc_lo, 5, v124
	s_waitcnt vmcnt(5)
	s_delay_alu instid0(VALU_DEP_2)
	v_cndmask_b32_e32 v2, v2, v15, vcc_lo
	s_clause 0x7
	scratch_load_b128 v[4:7], off, off offset:2672
	scratch_load_b128 v[8:11], off, off offset:2688
	scratch_load_b128 v[12:15], off, off offset:2704
	scratch_load_b128 v[16:19], off, off offset:2720
	scratch_load_b128 v[20:23], off, off offset:2736
	scratch_load_b128 v[24:27], off, off offset:2752
	scratch_load_b128 v[28:31], off, off offset:2768
	scratch_load_b128 v[32:35], off, off offset:2784
	s_waitcnt vmcnt(5)
	v_cndmask_b32_e32 v3, v3, v14, vcc_lo
	s_clause 0x7
	scratch_load_b128 v[4:7], off, off offset:2032
	scratch_load_b128 v[8:11], off, off offset:2048
	scratch_load_b128 v[12:15], off, off offset:2064
	scratch_load_b128 v[16:19], off, off offset:2080
	scratch_load_b128 v[20:23], off, off offset:2096
	scratch_load_b128 v[24:27], off, off offset:2112
	scratch_load_b128 v[28:31], off, off offset:2128
	scratch_load_b128 v[32:35], off, off offset:2144
	v_cmp_eq_u32_e32 vcc_lo, 6, v124
	s_waitcnt vmcnt(4)
	v_cndmask_b32_e32 v2, v2, v17, vcc_lo
	s_clause 0x7
	scratch_load_b128 v[4:7], off, off offset:2544
	scratch_load_b128 v[8:11], off, off offset:2560
	scratch_load_b128 v[12:15], off, off offset:2576
	scratch_load_b128 v[16:19], off, off offset:2592
	scratch_load_b128 v[20:23], off, off offset:2608
	scratch_load_b128 v[24:27], off, off offset:2624
	scratch_load_b128 v[28:31], off, off offset:2640
	scratch_load_b128 v[32:35], off, off offset:2656
	s_waitcnt vmcnt(4)
	v_cndmask_b32_e32 v3, v3, v16, vcc_lo
	s_clause 0x7
	scratch_load_b128 v[4:7], off, off offset:1904
	scratch_load_b128 v[8:11], off, off offset:1920
	scratch_load_b128 v[12:15], off, off offset:1936
	scratch_load_b128 v[16:19], off, off offset:1952
	scratch_load_b128 v[20:23], off, off offset:1968
	scratch_load_b128 v[24:27], off, off offset:1984
	scratch_load_b128 v[28:31], off, off offset:2000
	scratch_load_b128 v[32:35], off, off offset:2016
	v_cmp_eq_u32_e32 vcc_lo, 7, v124
	s_waitcnt vmcnt(4)
	;; [unrolled: 23-line block ×3, first 2 shown]
	v_cndmask_b32_e32 v141, v2, v21, vcc_lo
	s_clause 0x7
	scratch_load_b128 v[6:9], off, off offset:2288
	scratch_load_b128 v[10:13], off, off offset:2304
	;; [unrolled: 1-line block ×8, first 2 shown]
	s_waitcnt vmcnt(3)
	v_cndmask_b32_e32 v140, v3, v22, vcc_lo
	s_and_saveexec_b32 s5, s0
	s_cbranch_execz .LBB0_19
; %bb.16:
	s_clause 0x7
	scratch_load_b128 v[13:16], off, off offset:112
	scratch_load_b128 v[17:20], off, off offset:128
	;; [unrolled: 1-line block ×8, first 2 shown]
	v_dual_mov_b32 v125, -1 :: v_dual_mov_b32 v64, v124
	v_dual_mov_b32 v0, -1 :: v_dual_mov_b32 v59, -1
	v_mov_b32_e32 v126, -1
	s_mov_b32 s6, 0
	s_waitcnt vmcnt(3)
	v_mov_b32_e32 v54, v30
	s_clause 0x7
	scratch_load_b128 v[19:22], off, off offset:1904
	scratch_load_b128 v[23:26], off, off offset:1920
	scratch_load_b128 v[27:30], off, off offset:1936
	scratch_load_b128 v[31:34], off, off offset:1952
	scratch_load_b128 v[35:38], off, off offset:1968
	scratch_load_b128 v[39:42], off, off offset:1984
	scratch_load_b128 v[43:46], off, off offset:2000
	scratch_load_b128 v[47:50], off, off offset:2016
	v_dual_mov_b32 v60, v140 :: v_dual_mov_b32 v61, v141
	s_waitcnt vmcnt(4)
	v_mov_b32_e32 v55, v34
	s_clause 0x7
	scratch_load_b128 v[19:22], off, off offset:2032
	scratch_load_b128 v[23:26], off, off offset:2048
	scratch_load_b128 v[27:30], off, off offset:2064
	scratch_load_b128 v[31:34], off, off offset:2080
	scratch_load_b128 v[35:38], off, off offset:2096
	scratch_load_b128 v[39:42], off, off offset:2112
	scratch_load_b128 v[43:46], off, off offset:2128
	scratch_load_b128 v[47:50], off, off offset:2144
	s_waitcnt vmcnt(4)
	v_mov_b32_e32 v56, v32
	s_clause 0x7
	scratch_load_b128 v[19:22], off, off offset:2160
	scratch_load_b128 v[23:26], off, off offset:2176
	scratch_load_b128 v[27:30], off, off offset:2192
	scratch_load_b128 v[31:34], off, off offset:2208
	scratch_load_b128 v[35:38], off, off offset:2224
	scratch_load_b128 v[39:42], off, off offset:2240
	scratch_load_b128 v[43:46], off, off offset:2256
	scratch_load_b128 v[47:50], off, off offset:2272
	;; [unrolled: 11-line block ×6, first 2 shown]
.LBB0_17:                               ; =>This Inner Loop Header: Depth=1
	s_waitcnt vmcnt(7)
	v_lshl_add_u32 v2, v64, 2, v228
	v_dual_mov_b32 v139, v61 :: v_dual_mov_b32 v138, v60
	scratch_load_b32 v20, v2, off
	v_cmp_gt_f64_e64 s3, 0, v[138:139]
	s_waitcnt vmcnt(0)
	v_cmp_gt_i32_e32 vcc_lo, 0, v20
	v_cndmask_b32_e32 v21, v20, v124, vcc_lo
	s_delay_alu instid0(VALU_DEP_1) | instskip(SKIP_1) | instid1(VALU_DEP_2)
	v_cmp_eq_u32_e64 s1, 1, v21
	v_cmp_eq_u32_e64 s2, 2, v21
	v_cndmask_b32_e64 v2, v242, v246, s1
	v_cndmask_b32_e64 v3, v241, v245, s1
	v_cmp_eq_u32_e64 s1, 3, v21
	s_delay_alu instid0(VALU_DEP_3) | instskip(NEXT) | instid1(VALU_DEP_3)
	v_cndmask_b32_e64 v2, v2, v250, s2
	v_cndmask_b32_e64 v3, v3, v249, s2
	s_delay_alu instid0(VALU_DEP_2) | instskip(NEXT) | instid1(VALU_DEP_2)
	v_cndmask_b32_e64 v2, v2, v193, s1
	v_cndmask_b32_e64 v3, v3, v192, s1
	v_cmp_eq_u32_e64 s1, 4, v21
	s_delay_alu instid0(VALU_DEP_1) | instskip(NEXT) | instid1(VALU_DEP_3)
	v_cndmask_b32_e64 v2, v2, v63, s1
	v_cndmask_b32_e64 v3, v3, v62, s1
	v_cmp_eq_u32_e64 s1, 5, v21
	s_delay_alu instid0(VALU_DEP_1) | instskip(NEXT) | instid1(VALU_DEP_3)
	v_cndmask_b32_e64 v2, v2, v57, s1
	v_cndmask_b32_e64 v3, v3, v11, s1
	v_cmp_eq_u32_e64 s1, 6, v21
	s_delay_alu instid0(VALU_DEP_1) | instskip(NEXT) | instid1(VALU_DEP_3)
	v_cndmask_b32_e64 v2, v2, v56, s1
	v_cndmask_b32_e64 v3, v3, v33, s1
	v_cmp_eq_u32_e64 s1, 7, v21
	s_delay_alu instid0(VALU_DEP_1) | instskip(NEXT) | instid1(VALU_DEP_3)
	v_cndmask_b32_e64 v2, v2, v55, s1
	v_cndmask_b32_e64 v3, v3, v43, s1
	v_cmp_eq_u32_e64 s1, 8, v21
	s_delay_alu instid0(VALU_DEP_1) | instskip(NEXT) | instid1(VALU_DEP_3)
	v_cndmask_b32_e64 v17, v2, v54, s1
	v_cndmask_b32_e64 v16, v3, v58, s1
	v_cmp_le_f64_e64 s1, 0, v[138:139]
	s_delay_alu instid0(VALU_DEP_3) | instskip(NEXT) | instid1(VALU_DEP_3)
	v_mov_b32_e32 v61, v17
	v_cmp_gt_f64_e64 s2, 0, v[16:17]
	v_cmp_le_f64_e64 s4, 0, v[16:17]
	v_mov_b32_e32 v60, v16
	s_delay_alu instid0(VALU_DEP_3) | instskip(NEXT) | instid1(VALU_DEP_2)
	s_and_b32 s1, s1, s2
	s_and_b32 s2, s3, s4
	v_cndmask_b32_e64 v125, v125, v64, s1
	v_cndmask_b32_e64 v0, v0, v64, s2
	v_mov_b32_e32 v64, v20
	v_cndmask_b32_e64 v59, v59, v21, s1
	v_cndmask_b32_e64 v126, v126, v21, s2
	s_or_b32 s6, vcc_lo, s6
	s_delay_alu instid0(SALU_CYCLE_1)
	s_and_not1_b32 exec_lo, exec_lo, s6
	s_cbranch_execnz .LBB0_17
; %bb.18:
	s_or_b32 exec_lo, exec_lo, s6
.LBB0_19:
	s_delay_alu instid0(SALU_CYCLE_1) | instskip(SKIP_4) | instid1(VALU_DEP_4)
	s_or_b32 exec_lo, exec_lo, s5
	v_cmp_lt_i32_e64 s1, -1, v125
	v_mov_b32_e32 v127, -1
	v_mov_b32_e32 v137, -1
	;; [unrolled: 1-line block ×3, first 2 shown]
	s_and_saveexec_b32 s23, s1
	s_cbranch_execz .LBB0_21
; %bb.20:
	s_clause 0x7
	scratch_load_b128 v[11:14], off, off offset:2160
	scratch_load_b128 v[15:18], off, off offset:2176
	scratch_load_b128 v[19:22], off, off offset:2192
	scratch_load_b128 v[23:26], off, off offset:2208
	scratch_load_b128 v[27:30], off, off offset:2224
	scratch_load_b128 v[31:34], off, off offset:2240
	scratch_load_b128 v[35:38], off, off offset:2256
	scratch_load_b128 v[39:42], off, off offset:2272
	v_cmp_eq_u32_e64 s2, 1, v59
	v_cmp_eq_u32_e64 s3, 2, v59
	;; [unrolled: 1-line block ×5, first 2 shown]
	v_cndmask_b32_e64 v7, v242, v246, s2
	v_cndmask_b32_e64 v10, v241, v245, s2
	v_cmp_eq_u32_e64 s8, 6, v59
	v_cmp_eq_u32_e64 s10, 7, v59
	v_cmp_eq_u32_e64 s11, 8, v59
	v_cndmask_b32_e64 v7, v7, v250, s3
	v_cndmask_b32_e64 v10, v10, v249, s3
	v_cmp_eq_u32_e64 s12, 1, v125
	v_cmp_eq_u32_e64 s13, 2, v125
	v_cmp_eq_u32_e64 s14, 3, v125
	;; [unrolled: 5-line block ×3, first 2 shown]
	v_cndmask_b32_e64 v7, v7, v63, s5
	v_cndmask_b32_e64 v10, v10, v62, s5
	v_cmp_eq_u32_e64 s18, 7, v125
	v_cmp_eq_u32_e64 s19, 8, v125
	s_waitcnt vmcnt(5)
	v_dual_mov_b32 v72, v53 :: v_dual_mov_b32 v45, v22
	s_clause 0x7
	scratch_load_b128 v[11:14], off, off offset:2032
	scratch_load_b128 v[15:18], off, off offset:2048
	scratch_load_b128 v[19:22], off, off offset:2064
	scratch_load_b128 v[23:26], off, off offset:2080
	scratch_load_b128 v[27:30], off, off offset:2096
	scratch_load_b128 v[31:34], off, off offset:2112
	scratch_load_b128 v[35:38], off, off offset:2128
	scratch_load_b128 v[39:42], off, off offset:2144
	s_waitcnt vmcnt(4)
	v_mov_b32_e32 v44, v24
	s_clause 0x7
	scratch_load_b128 v[11:14], off, off offset:1904
	scratch_load_b128 v[15:18], off, off offset:1920
	;; [unrolled: 1-line block ×8, first 2 shown]
	v_cndmask_b32_e64 v7, v7, v45, s6
	s_delay_alu instid0(VALU_DEP_1)
	v_cndmask_b32_e64 v7, v7, v44, s8
	s_waitcnt vmcnt(4)
	v_mov_b32_e32 v43, v26
	s_clause 0x7
	scratch_load_b128 v[11:14], off, off offset:2672
	scratch_load_b128 v[15:18], off, off offset:2688
	;; [unrolled: 1-line block ×8, first 2 shown]
	s_waitcnt vmcnt(5)
	v_mov_b32_e32 v48, v21
	s_clause 0x7
	scratch_load_b128 v[11:14], off, off offset:2544
	scratch_load_b128 v[15:18], off, off offset:2560
	;; [unrolled: 1-line block ×8, first 2 shown]
	v_cndmask_b32_e64 v7, v7, v43, s10
	v_cndmask_b32_e64 v10, v10, v48, s6
	s_waitcnt vmcnt(4)
	v_mov_b32_e32 v47, v23
	s_clause 0x7
	scratch_load_b128 v[11:14], off, off offset:2416
	scratch_load_b128 v[15:18], off, off offset:2432
	;; [unrolled: 1-line block ×8, first 2 shown]
	s_waitcnt vmcnt(4)
	v_mov_b32_e32 v46, v25
	s_clause 0x7
	scratch_load_b128 v[11:14], off, off offset:112
	scratch_load_b128 v[15:18], off, off offset:128
	;; [unrolled: 1-line block ×8, first 2 shown]
	v_cndmask_b32_e64 v10, v10, v47, s8
	s_delay_alu instid0(VALU_DEP_1) | instskip(SKIP_2) | instid1(VALU_DEP_1)
	v_cndmask_b32_e64 v1, v10, v46, s10
	s_waitcnt vmcnt(1)
	v_mov_b32_e32 v35, v28
	v_cndmask_b32_e64 v2, v7, v35, s11
	s_clause 0x7
	scratch_load_b128 v[3:6], off, off offset:2288
	scratch_load_b128 v[7:10], off, off offset:2304
	;; [unrolled: 1-line block ×8, first 2 shown]
	s_waitcnt vmcnt(6)
	v_cndmask_b32_e64 v7, v242, v246, s12
	v_cndmask_b32_e64 v10, v241, v245, s12
	scratch_load_b32 v137, off, off offset:100
	v_cndmask_b32_e64 v7, v7, v250, s13
	v_cndmask_b32_e64 v10, v10, v249, s13
	s_delay_alu instid0(VALU_DEP_2) | instskip(NEXT) | instid1(VALU_DEP_2)
	v_cndmask_b32_e64 v7, v7, v193, s14
	v_cndmask_b32_e64 v10, v10, v192, s14
	s_delay_alu instid0(VALU_DEP_2) | instskip(NEXT) | instid1(VALU_DEP_2)
	;; [unrolled: 3-line block ×5, first 2 shown]
	v_cndmask_b32_e64 v7, v7, v43, s18
	v_cndmask_b32_e64 v10, v10, v46, s18
	s_waitcnt vmcnt(4)
	s_delay_alu instid0(VALU_DEP_2) | instskip(SKIP_1) | instid1(VALU_DEP_3)
	v_cndmask_b32_e64 v21, v7, v35, s19
	v_cndmask_b32_e64 v1, v1, v19, s11
	;; [unrolled: 1-line block ×3, first 2 shown]
	s_waitcnt vmcnt(0)
	v_cmp_eq_u32_e64 s20, 7, v137
	v_cmp_eq_u32_e64 s21, 6, v137
	v_add_f64 v[22:23], -v[1:2], 0
	v_add_f64 v[24:25], v[20:21], -v[1:2]
	v_cmp_eq_u32_e64 s22, 5, v137
	v_cmp_eq_u32_e64 s9, 4, v137
	;; [unrolled: 1-line block ×3, first 2 shown]
	s_delay_alu instid0(VALU_DEP_4) | instskip(NEXT) | instid1(VALU_DEP_1)
	v_div_scale_f64 v[26:27], null, v[24:25], v[24:25], v[22:23]
	v_rcp_f64_e32 v[28:29], v[26:27]
	s_waitcnt_depctr 0xfff
	v_fma_f64 v[30:31], -v[26:27], v[28:29], 1.0
	s_delay_alu instid0(VALU_DEP_1) | instskip(NEXT) | instid1(VALU_DEP_1)
	v_fma_f64 v[28:29], v[28:29], v[30:31], v[28:29]
	v_fma_f64 v[30:31], -v[26:27], v[28:29], 1.0
	s_delay_alu instid0(VALU_DEP_1) | instskip(SKIP_1) | instid1(VALU_DEP_1)
	v_fma_f64 v[28:29], v[28:29], v[30:31], v[28:29]
	v_div_scale_f64 v[30:31], vcc_lo, v[22:23], v[24:25], v[22:23]
	v_mul_f64 v[32:33], v[30:31], v[28:29]
	s_delay_alu instid0(VALU_DEP_1) | instskip(SKIP_1) | instid1(VALU_DEP_1)
	v_fma_f64 v[26:27], -v[26:27], v[32:33], v[30:31]
	v_cndmask_b32_e64 v31, v243, v239, s12
	v_cndmask_b32_e64 v31, v31, v237, s13
	s_delay_alu instid0(VALU_DEP_3) | instskip(SKIP_2) | instid1(VALU_DEP_1)
	v_div_fmas_f64 v[26:27], v[26:27], v[28:29], v[32:33]
	v_cmp_eq_u32_e32 vcc_lo, 8, v137
	v_cndmask_b32_e64 v29, v243, v239, s2
	v_cndmask_b32_e64 v29, v29, v237, s3
	s_delay_alu instid0(VALU_DEP_4) | instskip(SKIP_1) | instid1(VALU_DEP_1)
	v_div_fixup_f64 v[77:78], v[26:27], v[24:25], v[22:23]
	v_cndmask_b32_e64 v24, v244, v240, s2
	v_cndmask_b32_e64 v24, v24, v238, s3
	s_delay_alu instid0(VALU_DEP_3) | instskip(NEXT) | instid1(VALU_DEP_1)
	v_add_f64 v[75:76], -v[77:78], 1.0
	v_mul_f64 v[16:17], v[1:2], v[75:76]
	s_delay_alu instid0(VALU_DEP_1) | instskip(NEXT) | instid1(VALU_DEP_1)
	v_fma_f64 v[79:80], v[20:21], v[77:78], v[16:17]
	v_dual_mov_b32 v71, v52 :: v_dual_cndmask_b32 v128, v19, v79
	v_cndmask_b32_e64 v129, v46, v79, s20
	v_cndmask_b32_e64 v130, v47, v79, s21
	;; [unrolled: 1-line block ×3, first 2 shown]
	v_cndmask_b32_e32 v136, v35, v80, vcc_lo
	v_cndmask_b32_e64 v134, v43, v80, s20
	v_cndmask_b32_e64 v133, v44, v80, s21
	;; [unrolled: 1-line block ×7, first 2 shown]
	s_clause 0xf
	scratch_load_b128 v[34:37], off, off offset:880
	scratch_load_b128 v[38:41], off, off offset:896
	;; [unrolled: 1-line block ×16, first 2 shown]
	s_waitcnt vmcnt(14)
	v_cndmask_b32_e64 v24, v24, v41, s4
	s_waitcnt vmcnt(5)
	v_mov_b32_e32 v11, v197
	s_clause 0x7
	scratch_load_b128 v[186:189], off, off offset:1776
	scratch_load_b128 v[190:193], off, off offset:1792
	;; [unrolled: 1-line block ×8, first 2 shown]
	v_cndmask_b32_e64 v29, v29, v40, s4
	v_cndmask_b32_e64 v31, v31, v40, s14
	;; [unrolled: 1-line block ×3, first 2 shown]
	s_delay_alu instid0(VALU_DEP_3) | instskip(NEXT) | instid1(VALU_DEP_3)
	v_cndmask_b32_e64 v29, v29, v71, s5
	v_cndmask_b32_e64 v31, v31, v71, s15
	s_delay_alu instid0(VALU_DEP_3)
	v_cndmask_b32_e64 v24, v24, v11, s6
	s_waitcnt vmcnt(5)
	v_mov_b32_e32 v10, v196
	s_clause 0x7
	scratch_load_b128 v[186:189], off, off offset:1136
	scratch_load_b128 v[190:193], off, off offset:1152
	scratch_load_b128 v[194:197], off, off offset:1168
	scratch_load_b128 v[198:201], off, off offset:1184
	scratch_load_b128 v[202:205], off, off offset:1200
	scratch_load_b128 v[206:209], off, off offset:1216
	scratch_load_b128 v[210:213], off, off offset:1232
	scratch_load_b128 v[214:217], off, off offset:1248
	s_waitcnt vmcnt(4)
	v_mov_b32_e32 v13, v199
	s_clause 0x7
	scratch_load_b128 v[186:189], off, off offset:1648
	scratch_load_b128 v[190:193], off, off offset:1664
	scratch_load_b128 v[194:197], off, off offset:1680
	scratch_load_b128 v[198:201], off, off offset:1696
	scratch_load_b128 v[202:205], off, off offset:1712
	scratch_load_b128 v[206:209], off, off offset:1728
	scratch_load_b128 v[210:213], off, off offset:1744
	scratch_load_b128 v[214:217], off, off offset:1760
	v_cndmask_b32_e64 v29, v29, v10, s6
	v_cndmask_b32_e64 v31, v31, v10, s16
	v_cndmask_b32_e64 v24, v24, v13, s8
	s_waitcnt vmcnt(4)
	v_mov_b32_e32 v12, v198
	s_clause 0x7
	scratch_load_b128 v[186:189], off, off offset:1008
	scratch_load_b128 v[190:193], off, off offset:1024
	scratch_load_b128 v[194:197], off, off offset:1040
	scratch_load_b128 v[198:201], off, off offset:1056
	scratch_load_b128 v[202:205], off, off offset:1072
	scratch_load_b128 v[206:209], off, off offset:1088
	scratch_load_b128 v[210:213], off, off offset:1104
	scratch_load_b128 v[214:217], off, off offset:1120
	s_waitcnt vmcnt(4)
	v_mov_b32_e32 v15, v201
	s_clause 0x7
	scratch_load_b128 v[186:189], off, off offset:1520
	scratch_load_b128 v[190:193], off, off offset:1536
	scratch_load_b128 v[194:197], off, off offset:1552
	scratch_load_b128 v[198:201], off, off offset:1568
	scratch_load_b128 v[202:205], off, off offset:1584
	scratch_load_b128 v[206:209], off, off offset:1600
	scratch_load_b128 v[210:213], off, off offset:1616
	scratch_load_b128 v[214:217], off, off offset:1632
	v_cndmask_b32_e64 v29, v29, v12, s8
	v_cndmask_b32_e64 v31, v31, v12, s17
	;; [unrolled: 25-line block ×3, first 2 shown]
	v_cndmask_b32_e64 v30, v24, v17, s11
	v_cndmask_b32_e64 v24, v244, v240, s12
	s_delay_alu instid0(VALU_DEP_1) | instskip(NEXT) | instid1(VALU_DEP_1)
	v_cndmask_b32_e64 v24, v24, v238, s13
	v_cndmask_b32_e64 v24, v24, v41, s14
	s_delay_alu instid0(VALU_DEP_1) | instskip(NEXT) | instid1(VALU_DEP_1)
	;; [unrolled: 3-line block ×3, first 2 shown]
	v_cndmask_b32_e64 v24, v24, v13, s17
	v_cndmask_b32_e64 v24, v24, v15, s18
	s_delay_alu instid0(VALU_DEP_1) | instskip(SKIP_1) | instid1(VALU_DEP_1)
	v_cndmask_b32_e64 v32, v24, v17, s19
	v_cndmask_b32_e64 v24, v221, v219, s2
	;; [unrolled: 1-line block ×3, first 2 shown]
	s_delay_alu instid0(VALU_DEP_1) | instskip(NEXT) | instid1(VALU_DEP_1)
	v_cndmask_b32_e64 v24, v24, v175, s4
	v_cndmask_b32_e64 v24, v24, v185, s5
	s_waitcnt vmcnt(3)
	v_mov_b32_e32 v16, v202
	s_delay_alu instid0(VALU_DEP_1) | instskip(SKIP_1) | instid1(VALU_DEP_2)
	v_cndmask_b32_e64 v29, v29, v16, s11
	v_cndmask_b32_e64 v31, v31, v16, s19
	v_mul_f64 v[29:30], v[29:30], v[75:76]
	s_delay_alu instid0(VALU_DEP_1) | instskip(NEXT) | instid1(VALU_DEP_1)
	v_fma_f64 v[89:90], v[31:32], v[77:78], v[29:30]
	v_cndmask_b32_e32 v119, v17, v90, vcc_lo
	s_delay_alu instid0(VALU_DEP_2)
	v_cndmask_b32_e64 v120, v71, v89, s9
	v_cndmask_b32_e64 v122, v72, v90, s9
	s_clause 0x7
	scratch_load_b128 v[42:45], off, off offset:3576
	scratch_load_b128 v[46:49], off, off offset:3592
	;; [unrolled: 1-line block ×8, first 2 shown]
	v_cndmask_b32_e32 v115, v16, v89, vcc_lo
	v_cndmask_b32_e64 v123, v41, v90, s7
	v_cndmask_b32_e64 v41, v220, v218, s2
	;; [unrolled: 1-line block ×10, first 2 shown]
	s_delay_alu instid0(VALU_DEP_4) | instskip(NEXT) | instid1(VALU_DEP_1)
	v_cndmask_b32_e64 v41, v41, v174, s4
	v_cndmask_b32_e64 v41, v41, v184, s5
	s_delay_alu instid0(VALU_DEP_1) | instskip(NEXT) | instid1(VALU_DEP_1)
	v_cndmask_b32_e64 v41, v41, v96, s6
	v_cndmask_b32_e64 v41, v41, v95, s8
	s_waitcnt vmcnt(5)
	v_mov_b32_e32 v82, v53
	s_clause 0x7
	scratch_load_b128 v[42:45], off, off offset:3448
	scratch_load_b128 v[46:49], off, off offset:3464
	;; [unrolled: 1-line block ×8, first 2 shown]
	v_cndmask_b32_e64 v24, v24, v82, s6
	s_waitcnt vmcnt(4)
	v_mov_b32_e32 v81, v55
	s_clause 0x7
	scratch_load_b128 v[43:46], off, off offset:3320
	scratch_load_b128 v[47:50], off, off offset:3336
	;; [unrolled: 1-line block ×8, first 2 shown]
	s_waitcnt vmcnt(4)
	v_cndmask_b32_e64 v57, v41, v92, s10
	s_clause 0x7
	scratch_load_b128 v[25:28], off, off offset:3192
	scratch_load_b128 v[29:32], off, off offset:3208
	;; [unrolled: 1-line block ×8, first 2 shown]
	s_waitcnt vmcnt(3)
	v_cndmask_b32_e64 v41, v220, v218, s12
	v_cndmask_b32_e64 v24, v24, v81, s8
	s_waitcnt vmcnt(1)
	v_cndmask_b32_e64 v51, v222, v226, s2
	s_delay_alu instid0(VALU_DEP_3) | instskip(NEXT) | instid1(VALU_DEP_2)
	v_cndmask_b32_e64 v41, v41, v252, s13
	v_cndmask_b32_e64 v51, v51, v224, s3
	s_delay_alu instid0(VALU_DEP_2) | instskip(NEXT) | instid1(VALU_DEP_2)
	v_cndmask_b32_e64 v41, v41, v174, s14
	v_cndmask_b32_e64 v51, v51, v97, s4
	s_delay_alu instid0(VALU_DEP_2) | instskip(NEXT) | instid1(VALU_DEP_2)
	;; [unrolled: 3-line block ×3, first 2 shown]
	v_cndmask_b32_e64 v41, v41, v96, s16
	v_cndmask_b32_e64 v51, v51, v146, s6
	s_delay_alu instid0(VALU_DEP_2) | instskip(NEXT) | instid1(VALU_DEP_1)
	v_cndmask_b32_e64 v41, v41, v95, s17
	v_cndmask_b32_e64 v41, v41, v92, s18
	;; [unrolled: 1-line block ×3, first 2 shown]
	s_delay_alu instid0(VALU_DEP_1)
	v_cndmask_b32_e64 v45, v24, v42, s11
	s_clause 0x7
	scratch_load_b128 v[9:12], off, off offset:2928
	scratch_load_b128 v[13:16], off, off offset:2944
	;; [unrolled: 1-line block ×8, first 2 shown]
	s_waitcnt vmcnt(4)
	v_cndmask_b32_e64 v24, v221, v219, s12
	s_delay_alu instid0(VALU_DEP_1) | instskip(NEXT) | instid1(VALU_DEP_1)
	v_cndmask_b32_e64 v24, v24, v253, s13
	v_cndmask_b32_e64 v24, v24, v175, s14
	s_delay_alu instid0(VALU_DEP_1) | instskip(NEXT) | instid1(VALU_DEP_1)
	v_cndmask_b32_e64 v24, v24, v185, s15
	v_cndmask_b32_e64 v24, v24, v82, s16
	s_delay_alu instid0(VALU_DEP_1) | instskip(NEXT) | instid1(VALU_DEP_1)
	v_cndmask_b32_e64 v24, v24, v81, s17
	v_cndmask_b32_e64 v24, v24, v58, s18
	s_delay_alu instid0(VALU_DEP_1) | instskip(SKIP_2) | instid1(VALU_DEP_2)
	v_cndmask_b32_e64 v47, v24, v42, s19
	v_cndmask_b32_e64 v24, v223, v227, s2
	v_cmp_eq_u32_e64 s2, 6, v126
	v_cndmask_b32_e64 v24, v24, v225, s3
	v_cmp_eq_u32_e64 s3, 8, v126
	s_delay_alu instid0(VALU_DEP_2) | instskip(SKIP_1) | instid1(VALU_DEP_2)
	v_cndmask_b32_e64 v24, v24, v98, s4
	v_cmp_eq_u32_e64 s4, 4, v126
	v_cndmask_b32_e64 v24, v24, v108, s5
	v_cmp_eq_u32_e64 s5, 7, v126
	s_delay_alu instid0(VALU_DEP_2) | instskip(SKIP_4) | instid1(VALU_DEP_2)
	v_cndmask_b32_e64 v24, v24, v135, s6
	v_cmp_eq_u32_e64 s6, 5, v126
	s_waitcnt vmcnt(3)
	v_cndmask_b32_e64 v44, v57, v25, s11
	v_cndmask_b32_e64 v46, v41, v25, s19
	v_mul_f64 v[44:45], v[44:45], v[75:76]
	s_delay_alu instid0(VALU_DEP_1) | instskip(NEXT) | instid1(VALU_DEP_1)
	v_fma_f64 v[71:72], v[46:47], v[77:78], v[44:45]
	v_cndmask_b32_e32 v46, v25, v71, vcc_lo
	v_cndmask_b32_e64 v8, v174, v71, s7
	s_delay_alu instid0(VALU_DEP_3)
	v_cndmask_b32_e64 v9, v175, v72, s7
	s_clause 0x7
	scratch_load_b128 v[147:150], off, off offset:496
	scratch_load_b128 v[151:154], off, off offset:512
	;; [unrolled: 1-line block ×8, first 2 shown]
	v_cndmask_b32_e32 v50, v42, v72, vcc_lo
	v_cndmask_b32_e64 v49, v58, v72, s20
	v_cndmask_b32_e64 v45, v92, v71, s20
	;; [unrolled: 1-line block ×8, first 2 shown]
	s_waitcnt vmcnt(4)
	v_mov_b32_e32 v13, v160
	s_clause 0x7
	scratch_load_b128 v[147:150], off, off offset:752
	scratch_load_b128 v[151:154], off, off offset:768
	;; [unrolled: 1-line block ×8, first 2 shown]
	v_cndmask_b32_e64 v24, v24, v13, s8
	s_waitcnt vmcnt(4)
	v_mov_b32_e32 v12, v159
	s_clause 0x7
	scratch_load_b128 v[147:150], off, off offset:368
	scratch_load_b128 v[151:154], off, off offset:384
	;; [unrolled: 1-line block ×8, first 2 shown]
	s_waitcnt vmcnt(4)
	v_mov_b32_e32 v15, v162
	s_clause 0x7
	scratch_load_b128 v[147:150], off, off offset:624
	scratch_load_b128 v[151:154], off, off offset:640
	;; [unrolled: 1-line block ×8, first 2 shown]
	v_cndmask_b32_e64 v51, v51, v12, s8
	v_cmp_eq_u32_e64 s8, 3, v126
	v_cndmask_b32_e64 v24, v24, v15, s10
	s_waitcnt vmcnt(4)
	v_mov_b32_e32 v14, v161
	s_clause 0x7
	scratch_load_b128 v[147:150], off, off offset:240
	scratch_load_b128 v[151:154], off, off offset:256
	;; [unrolled: 1-line block ×8, first 2 shown]
	s_waitcnt vmcnt(3)
	v_mov_b32_e32 v17, v164
	s_clause 0x7
	scratch_load_b128 v[147:150], off, off offset:3056
	scratch_load_b128 v[151:154], off, off offset:3072
	;; [unrolled: 1-line block ×8, first 2 shown]
	v_cndmask_b32_e64 v51, v51, v14, s10
	v_cmp_eq_u32_e64 s10, 1, v0
	v_cndmask_b32_e64 v59, v24, v17, s11
	v_cndmask_b32_e64 v24, v223, v227, s12
	s_delay_alu instid0(VALU_DEP_1) | instskip(NEXT) | instid1(VALU_DEP_1)
	v_cndmask_b32_e64 v24, v24, v225, s13
	v_cndmask_b32_e64 v24, v24, v98, s14
	s_delay_alu instid0(VALU_DEP_1) | instskip(NEXT) | instid1(VALU_DEP_1)
	;; [unrolled: 3-line block ×3, first 2 shown]
	v_cndmask_b32_e64 v24, v24, v13, s17
	v_cndmask_b32_e64 v24, v24, v15, s18
	s_waitcnt vmcnt(3)
	v_mov_b32_e32 v16, v163
	s_delay_alu instid0(VALU_DEP_1) | instskip(SKIP_3) | instid1(VALU_DEP_4)
	v_cndmask_b32_e64 v58, v51, v16, s11
	v_cndmask_b32_e64 v51, v222, v226, s12
	v_cmp_eq_u32_e64 s12, 7, v0
	v_cmp_eq_u32_e64 s11, 8, v0
	v_mul_f64 v[56:57], v[58:59], v[75:76]
	s_delay_alu instid0(VALU_DEP_4) | instskip(SKIP_2) | instid1(VALU_DEP_3)
	v_cndmask_b32_e64 v51, v51, v224, s13
	v_cndmask_b32_e64 v59, v24, v17, s19
	v_cmp_eq_u32_e64 s13, 5, v0
	v_cndmask_b32_e64 v51, v51, v97, s14
	v_cmp_eq_u32_e64 s14, 6, v0
	s_delay_alu instid0(VALU_DEP_2) | instskip(SKIP_1) | instid1(VALU_DEP_2)
	v_cndmask_b32_e64 v51, v51, v107, s15
	v_cmp_eq_u32_e64 s15, 4, v0
	v_cndmask_b32_e64 v51, v51, v146, s16
	v_cmp_eq_u32_e64 s16, 2, v0
	s_delay_alu instid0(VALU_DEP_2) | instskip(SKIP_1) | instid1(VALU_DEP_2)
	;; [unrolled: 5-line block ×3, first 2 shown]
	v_cndmask_b32_e64 v58, v51, v16, s19
	v_cmp_eq_u32_e64 s19, 1, v126
	v_fma_f64 v[65:66], v[58:59], v[77:78], v[56:57]
	s_delay_alu instid0(VALU_DEP_1) | instskip(SKIP_1) | instid1(VALU_DEP_3)
	v_cndmask_b32_e64 v55, v14, v65, s20
	v_cndmask_b32_e64 v54, v12, v65, s21
	;; [unrolled: 1-line block ×4, first 2 shown]
	v_cmp_eq_u32_e64 s20, 1, v137
	v_cmp_eq_u32_e64 s21, 0, v137
	v_cndmask_b32_e64 v51, v146, v65, s22
	v_cndmask_b32_e64 v57, v135, v66, s22
	v_cmp_eq_u32_e64 s22, 2, v137
	v_cndmask_b32_e64 v62, v245, v79, s20
	v_cndmask_b32_e64 v61, v241, v79, s21
	;; [unrolled: 1-line block ×10, first 2 shown]
	v_cndmask_b32_e32 v56, v16, v65, vcc_lo
	v_cndmask_b32_e64 v68, v68, v87, s16
	v_cndmask_b32_e64 v74, v74, v87, s18
	;; [unrolled: 1-line block ×4, first 2 shown]
	v_cndmask_b32_e32 v60, v17, v66, vcc_lo
	v_cndmask_b32_e64 v68, v68, v109, s17
	v_cndmask_b32_e64 v74, v74, v109, s8
	;; [unrolled: 1-line block ×33, first 2 shown]
	v_add_f64 v[75:76], -v[67:68], 0
	v_cndmask_b32_e64 v69, v92, v91, s10
	v_add_f64 v[77:78], v[73:74], -v[67:68]
	v_cndmask_b32_e64 v94, v224, v65, s22
	v_cndmask_b32_e64 v101, v105, v100, s10
	v_cndmask_b32_e64 v102, v96, v95, s10
	s_delay_alu instid0(VALU_DEP_4) | instskip(SKIP_1) | instid1(VALU_DEP_2)
	v_div_scale_f64 v[79:80], null, v[77:78], v[77:78], v[75:76]
	v_div_scale_f64 v[85:86], vcc_lo, v[75:76], v[77:78], v[75:76]
	v_rcp_f64_e32 v[81:82], v[79:80]
	s_waitcnt_depctr 0xfff
	v_fma_f64 v[83:84], -v[79:80], v[81:82], 1.0
	s_delay_alu instid0(VALU_DEP_1) | instskip(NEXT) | instid1(VALU_DEP_1)
	v_fma_f64 v[81:82], v[81:82], v[83:84], v[81:82]
	v_fma_f64 v[83:84], -v[79:80], v[81:82], 1.0
	s_delay_alu instid0(VALU_DEP_1) | instskip(NEXT) | instid1(VALU_DEP_1)
	v_fma_f64 v[81:82], v[81:82], v[83:84], v[81:82]
	v_mul_f64 v[83:84], v[85:86], v[81:82]
	s_delay_alu instid0(VALU_DEP_1) | instskip(SKIP_2) | instid1(VALU_DEP_3)
	v_fma_f64 v[79:80], -v[79:80], v[83:84], v[85:86]
	v_cndmask_b32_e64 v86, v218, v71, s20
	v_cndmask_b32_e64 v85, v252, v71, s22
	v_div_fmas_f64 v[79:80], v[79:80], v[81:82], v[83:84]
	v_cndmask_b32_e64 v81, v243, v89, s21
	v_cndmask_b32_e64 v83, v240, v90, s20
	;; [unrolled: 1-line block ×6, first 2 shown]
	s_delay_alu instid0(VALU_DEP_4) | instskip(SKIP_1) | instid1(VALU_DEP_2)
	v_cndmask_b32_e64 v52, v84, v83, s10
	v_cndmask_b32_e64 v42, v84, v83, s19
	;; [unrolled: 1-line block ×3, first 2 shown]
	s_delay_alu instid0(VALU_DEP_2) | instskip(NEXT) | instid1(VALU_DEP_2)
	v_cndmask_b32_e64 v42, v42, v82, s18
	v_cndmask_b32_e64 v52, v52, v123, s17
	v_div_fixup_f64 v[75:76], v[79:80], v[77:78], v[75:76]
	v_cndmask_b32_e64 v80, v239, v89, s20
	v_cndmask_b32_e64 v79, v237, v89, s22
	;; [unrolled: 1-line block ×37, first 2 shown]
	v_add_f64 v[0:1], -v[75:76], 1.0
	v_cndmask_b32_e64 v66, v66, v78, s15
	v_cndmask_b32_e64 v72, v42, v118, s12
	;; [unrolled: 1-line block ×7, first 2 shown]
	s_delay_alu instid0(VALU_DEP_3) | instskip(NEXT) | instid1(VALU_DEP_2)
	v_cndmask_b32_e64 v70, v70, v78, s4
	v_cndmask_b32_e64 v71, v71, v77, s4
	s_delay_alu instid0(VALU_DEP_1)
	v_cndmask_b32_e64 v71, v71, v51, s6
	v_mul_f64 v[42:43], v[67:68], v[0:1]
	v_cndmask_b32_e64 v67, v69, v77, s15
	v_cndmask_b32_e64 v68, v52, v48, s14
	;; [unrolled: 1-line block ×9, first 2 shown]
	v_mul_f64 v[52:53], v[52:53], v[0:1]
	v_cndmask_b32_e64 v67, v67, v51, s13
	v_cndmask_b32_e64 v66, v68, v50, s11
	;; [unrolled: 1-line block ×7, first 2 shown]
	v_mul_f64 v[65:66], v[65:66], v[0:1]
	v_cndmask_b32_e64 v102, v104, v120, s4
	v_cndmask_b32_e64 v68, v68, v60, s11
	;; [unrolled: 1-line block ×8, first 2 shown]
	s_delay_alu instid0(VALU_DEP_4) | instskip(NEXT) | instid1(VALU_DEP_3)
	v_cndmask_b32_e64 v72, v72, v47, s6
	v_cndmask_b32_e64 v69, v69, v41, s6
	s_delay_alu instid0(VALU_DEP_3) | instskip(SKIP_4) | instid1(VALU_DEP_4)
	v_mul_f64 v[0:1], v[67:68], v[0:1]
	v_cndmask_b32_e64 v67, v101, v117, s2
	v_cndmask_b32_e64 v68, v102, v113, s2
	;; [unrolled: 1-line block ×5, first 2 shown]
	s_delay_alu instid0(VALU_DEP_4)
	v_cndmask_b32_e64 v102, v68, v114, s5
	v_fma_f64 v[67:68], v[73:74], v[75:76], v[42:43]
	v_cndmask_b32_e64 v72, v72, v49, s5
	v_cndmask_b32_e64 v74, v69, v45, s5
	;; [unrolled: 1-line block ×5, first 2 shown]
	s_delay_alu instid0(VALU_DEP_2) | instskip(SKIP_4) | instid1(VALU_DEP_3)
	v_fma_f64 v[69:70], v[42:43], v[75:76], v[52:53]
	v_cndmask_b32_e64 v43, v72, v50, s3
	v_cndmask_b32_e64 v42, v74, v46, s3
	v_cndmask_b32_e64 v53, v71, v54, s2
	v_cndmask_b32_e64 v52, v73, v58, s2
	v_fma_f64 v[71:72], v[42:43], v[75:76], v[65:66]
	v_lshlrev_b32_e32 v24, 2, v137
	s_delay_alu instid0(VALU_DEP_3) | instskip(SKIP_1) | instid1(VALU_DEP_3)
	v_cndmask_b32_e64 v52, v52, v59, s5
	v_cndmask_b32_e64 v53, v53, v55, s5
	v_add3_u32 v24, 16, v24, 40
	s_delay_alu instid0(VALU_DEP_3)
	v_cndmask_b32_e64 v43, v52, v60, s3
	scratch_load_b32 v39, v24, off
	s_waitcnt vmcnt(0)
	v_cmp_eq_u32_e32 vcc_lo, 3, v39
	v_cmp_eq_u32_e64 s2, 4, v39
	v_cmp_eq_u32_e64 s4, 1, v39
	;; [unrolled: 1-line block ×3, first 2 shown]
	v_cndmask_b32_e32 v175, v9, v72, vcc_lo
	v_cndmask_b32_e32 v193, v111, v68, vcc_lo
	v_cndmask_b32_e64 v42, v53, v56, s3
	v_dual_cndmask_b32 v26, v123, v70 :: v_dual_cndmask_b32 v25, v121, v69
	v_cmp_eq_u32_e64 s3, 2, v39
	v_cndmask_b32_e32 v192, v109, v67, vcc_lo
	s_delay_alu instid0(VALU_DEP_4)
	v_fma_f64 v[73:74], v[42:43], v[75:76], v[0:1]
	v_lshlrev_b32_e32 v6, 2, v39
	v_cndmask_b32_e32 v174, v8, v71, vcc_lo
	v_cndmask_b32_e64 v11, v110, v68, s2
	v_cndmask_b32_e64 v10, v106, v67, s2
	v_cndmask_b32_e64 v184, v18, v71, s2
	v_cndmask_b32_e64 v53, v122, v70, s2
	v_cndmask_b32_e64 v52, v120, v69, s2
	v_cndmask_b32_e64 v250, v88, v68, s3
	v_cndmask_b32_e64 v249, v87, v67, s3
	v_cndmask_b32_e64 v238, v82, v70, s3
	v_cndmask_b32_e64 v237, v79, v69, s3
	v_cndmask_b32_e64 v253, v90, v72, s3
	v_cndmask_b32_e64 v252, v85, v71, s3
	v_cndmask_b32_e64 v246, v63, v68, s4
	v_cndmask_b32_e64 v245, v62, v67, s4
	v_cndmask_b32_e64 v240, v83, v70, s4
	v_cndmask_b32_e64 v239, v80, v69, s4
	v_cndmask_b32_e64 v219, v91, v72, s4
	v_cndmask_b32_e64 v218, v86, v71, s4
	v_cndmask_b32_e64 v242, v64, v68, s5
	v_cndmask_b32_e64 v241, v61, v67, s5
	v_cndmask_b32_e64 v244, v84, v70, s5
	v_cndmask_b32_e64 v243, v81, v69, s5
	v_cndmask_b32_e64 v221, v92, v72, s5
	v_cndmask_b32_e64 v220, v89, v71, s5
	v_cndmask_b32_e32 v98, v97, v74, vcc_lo
	v_cndmask_b32_e32 v97, v93, v73, vcc_lo
	v_add3_u32 v6, 16, v6, 40
	v_cndmask_b32_e64 v108, v78, v74, s2
	v_cndmask_b32_e64 v107, v77, v73, s2
	;; [unrolled: 1-line block ×4, first 2 shown]
	scratch_load_b32 v6, v6, off
	v_cndmask_b32_e64 v227, v100, v74, s4
	v_cndmask_b32_e64 v226, v95, v73, s4
	;; [unrolled: 1-line block ×4, first 2 shown]
	s_waitcnt vmcnt(0)
	s_clause 0x8
	scratch_store_b32 off, v6, off offset:100
	scratch_store_b128 off, v[19:22], off offset:880
	scratch_store_b128 off, v[23:26], off offset:896
	;; [unrolled: 1-line block ×8, first 2 shown]
	v_cmp_eq_u32_e32 vcc_lo, 8, v39
	v_cndmask_b32_e64 v185, v19, v72, s2
	v_cmp_eq_u32_e64 s2, 7, v39
	v_cmp_eq_u32_e64 s3, 6, v39
	;; [unrolled: 1-line block ×3, first 2 shown]
	v_cndmask_b32_e32 v17, v136, v68, vcc_lo
	s_clause 0x7
	scratch_store_b128 off, v[0:3], off offset:112
	scratch_store_b128 off, v[4:7], off offset:128
	;; [unrolled: 1-line block ×8, first 2 shown]
	v_cndmask_b32_e32 v16, v128, v67, vcc_lo
	v_cndmask_b32_e64 v92, v45, v71, s2
	v_cndmask_b32_e64 v95, v44, v71, s3
	;; [unrolled: 1-line block ×5, first 2 shown]
	s_clause 0x7
	scratch_store_b128 off, v[0:3], off offset:2288
	scratch_store_b128 off, v[4:7], off offset:2304
	scratch_store_b128 off, v[8:11], off offset:2320
	scratch_store_b128 off, v[12:15], off offset:2336
	scratch_store_b128 off, v[16:19], off offset:2352
	scratch_store_b128 off, v[20:23], off offset:2368
	scratch_store_b128 off, v[24:27], off offset:2384
	scratch_store_b128 off, v[28:31], off offset:2400
	v_cndmask_b32_e64 v15, v134, v68, s2
	s_clause 0x7
	scratch_store_b128 off, v[0:3], off offset:1904
	scratch_store_b128 off, v[4:7], off offset:1920
	scratch_store_b128 off, v[8:11], off offset:1936
	scratch_store_b128 off, v[12:15], off offset:1952
	scratch_store_b128 off, v[16:19], off offset:1968
	scratch_store_b128 off, v[20:23], off offset:1984
	scratch_store_b128 off, v[24:27], off offset:2000
	scratch_store_b128 off, v[28:31], off offset:2016
	v_cndmask_b32_e64 v14, v129, v67, s2
	s_clause 0x7
	scratch_store_b128 off, v[0:3], off offset:2416
	scratch_store_b128 off, v[4:7], off offset:2432
	scratch_store_b128 off, v[8:11], off offset:2448
	scratch_store_b128 off, v[12:15], off offset:2464
	scratch_store_b128 off, v[16:19], off offset:2480
	scratch_store_b128 off, v[20:23], off offset:2496
	scratch_store_b128 off, v[24:27], off offset:2512
	scratch_store_b128 off, v[28:31], off offset:2528
	v_cndmask_b32_e64 v13, v133, v68, s3
	s_clause 0x7
	scratch_store_b128 off, v[0:3], off offset:2032
	scratch_store_b128 off, v[4:7], off offset:2048
	scratch_store_b128 off, v[8:11], off offset:2064
	scratch_store_b128 off, v[12:15], off offset:2080
	scratch_store_b128 off, v[16:19], off offset:2096
	scratch_store_b128 off, v[20:23], off offset:2112
	scratch_store_b128 off, v[24:27], off offset:2128
	scratch_store_b128 off, v[28:31], off offset:2144
	v_cndmask_b32_e64 v12, v130, v67, s3
	s_clause 0x7
	scratch_store_b128 off, v[0:3], off offset:2544
	scratch_store_b128 off, v[4:7], off offset:2560
	scratch_store_b128 off, v[8:11], off offset:2576
	scratch_store_b128 off, v[12:15], off offset:2592
	scratch_store_b128 off, v[16:19], off offset:2608
	scratch_store_b128 off, v[20:23], off offset:2624
	scratch_store_b128 off, v[24:27], off offset:2640
	scratch_store_b128 off, v[28:31], off offset:2656
	v_cndmask_b32_e64 v12, v132, v68, s4
	s_clause 0x7
	scratch_store_b128 off, v[1:4], off offset:2160
	scratch_store_b128 off, v[5:8], off offset:2176
	scratch_store_b128 off, v[9:12], off offset:2192
	scratch_store_b128 off, v[13:16], off offset:2208
	scratch_store_b128 off, v[17:20], off offset:2224
	scratch_store_b128 off, v[21:24], off offset:2240
	scratch_store_b128 off, v[25:28], off offset:2256
	scratch_store_b128 off, v[29:32], off offset:2272
	v_cndmask_b32_e64 v12, v131, v67, s4
	s_clause 0x7
	scratch_store_b128 off, v[2:5], off offset:2672
	scratch_store_b128 off, v[6:9], off offset:2688
	;; [unrolled: 1-line block ×8, first 2 shown]
	v_cndmask_b32_e32 v17, v119, v70, vcc_lo
	s_clause 0x7
	scratch_store_b128 off, v[0:3], off offset:2800
	scratch_store_b128 off, v[4:7], off offset:2816
	;; [unrolled: 1-line block ×8, first 2 shown]
	v_cndmask_b32_e32 v16, v115, v69, vcc_lo
	s_clause 0x7
	scratch_store_b128 off, v[0:3], off offset:1392
	scratch_store_b128 off, v[4:7], off offset:1408
	scratch_store_b128 off, v[8:11], off offset:1424
	scratch_store_b128 off, v[12:15], off offset:1440
	scratch_store_b128 off, v[16:19], off offset:1456
	scratch_store_b128 off, v[20:23], off offset:1472
	scratch_store_b128 off, v[24:27], off offset:1488
	scratch_store_b128 off, v[28:31], off offset:1504
	v_cndmask_b32_e64 v15, v118, v70, s2
	s_clause 0x7
	scratch_store_b128 off, v[0:3], off offset:1008
	scratch_store_b128 off, v[4:7], off offset:1024
	scratch_store_b128 off, v[8:11], off offset:1040
	scratch_store_b128 off, v[12:15], off offset:1056
	scratch_store_b128 off, v[16:19], off offset:1072
	scratch_store_b128 off, v[20:23], off offset:1088
	scratch_store_b128 off, v[24:27], off offset:1104
	scratch_store_b128 off, v[28:31], off offset:1120
	v_cndmask_b32_e64 v14, v114, v69, s2
	;; [unrolled: 10-line block ×6, first 2 shown]
	s_clause 0x7
	scratch_store_b128 off, v[2:5], off offset:1776
	scratch_store_b128 off, v[6:9], off offset:1792
	;; [unrolled: 1-line block ×8, first 2 shown]
	v_cndmask_b32_e32 v17, v50, v72, vcc_lo
	s_clause 0x7
	scratch_store_b128 off, v[0:3], off offset:3192
	scratch_store_b128 off, v[4:7], off offset:3208
	;; [unrolled: 1-line block ×8, first 2 shown]
	v_cndmask_b32_e32 v16, v46, v71, vcc_lo
	s_clause 0x7
	scratch_store_b128 off, v[0:3], off offset:2928
	scratch_store_b128 off, v[4:7], off offset:2944
	scratch_store_b128 off, v[8:11], off offset:2960
	scratch_store_b128 off, v[12:15], off offset:2976
	scratch_store_b128 off, v[16:19], off offset:2992
	scratch_store_b128 off, v[20:23], off offset:3008
	scratch_store_b128 off, v[24:27], off offset:3024
	scratch_store_b128 off, v[28:31], off offset:3040
	v_cndmask_b32_e64 v16, v49, v72, s2
	s_clause 0x7
	scratch_store_b128 off, v[1:4], off offset:3320
	scratch_store_b128 off, v[5:8], off offset:3336
	scratch_store_b128 off, v[9:12], off offset:3352
	scratch_store_b128 off, v[13:16], off offset:3368
	scratch_store_b128 off, v[17:20], off offset:3384
	scratch_store_b128 off, v[21:24], off offset:3400
	scratch_store_b128 off, v[25:28], off offset:3416
	scratch_store_b128 off, v[29:32], off offset:3432
	v_cndmask_b32_e64 v16, v48, v72, s3
	s_clause 0x7
	scratch_store_b128 off, v[3:6], off offset:3448
	scratch_store_b128 off, v[7:10], off offset:3464
	scratch_store_b128 off, v[11:14], off offset:3480
	scratch_store_b128 off, v[15:18], off offset:3496
	scratch_store_b128 off, v[19:22], off offset:3512
	scratch_store_b128 off, v[23:26], off offset:3528
	scratch_store_b128 off, v[27:30], off offset:3544
	scratch_store_b128 off, v[31:34], off offset:3560
	v_cndmask_b32_e64 v12, v47, v72, s4
	s_clause 0x7
	scratch_store_b128 off, v[1:4], off offset:3576
	scratch_store_b128 off, v[5:8], off offset:3592
	;; [unrolled: 1-line block ×8, first 2 shown]
	v_cndmask_b32_e32 v17, v60, v74, vcc_lo
	s_clause 0x7
	scratch_store_b128 off, v[0:3], off offset:240
	scratch_store_b128 off, v[4:7], off offset:256
	;; [unrolled: 1-line block ×8, first 2 shown]
	v_cndmask_b32_e32 v16, v56, v73, vcc_lo
	s_clause 0x7
	scratch_store_b128 off, v[0:3], off offset:3056
	scratch_store_b128 off, v[4:7], off offset:3072
	scratch_store_b128 off, v[8:11], off offset:3088
	scratch_store_b128 off, v[12:15], off offset:3104
	scratch_store_b128 off, v[16:19], off offset:3120
	scratch_store_b128 off, v[20:23], off offset:3136
	scratch_store_b128 off, v[24:27], off offset:3152
	scratch_store_b128 off, v[28:31], off offset:3168
	v_cndmask_b32_e64 v15, v59, v74, s2
	s_clause 0x7
	scratch_store_b128 off, v[0:3], off offset:368
	scratch_store_b128 off, v[4:7], off offset:384
	scratch_store_b128 off, v[8:11], off offset:400
	scratch_store_b128 off, v[12:15], off offset:416
	scratch_store_b128 off, v[16:19], off offset:432
	scratch_store_b128 off, v[20:23], off offset:448
	scratch_store_b128 off, v[24:27], off offset:464
	scratch_store_b128 off, v[28:31], off offset:480
	v_cndmask_b32_e64 v14, v55, v73, s2
	;; [unrolled: 10-line block ×4, first 2 shown]
	s_clause 0x7
	scratch_store_b128 off, v[0:3], off offset:752
	scratch_store_b128 off, v[4:7], off offset:768
	;; [unrolled: 1-line block ×8, first 2 shown]
	v_dual_mov_b32 v63, v11 :: v_dual_mov_b32 v62, v10
.LBB0_21:
	s_or_b32 exec_lo, exec_lo, s23
	s_mov_b32 s2, 0
	scratch_store_b32 off, v127, off offset:96
	s_and_saveexec_b32 s3, s0
	s_cbranch_execz .LBB0_31
; %bb.22:
	v_cmp_gt_f64_e32 vcc_lo, 0, v[140:141]
	s_mov_b32 s4, 0
	s_branch .LBB0_24
.LBB0_23:                               ;   in Loop: Header=BB0_24 Depth=1
	s_or_b32 exec_lo, exec_lo, s0
	s_waitcnt vmcnt(0)
	v_cmp_gt_i32_e64 s0, 0, v4
	v_mov_b32_e32 v124, v4
	s_delay_alu instid0(VALU_DEP_2) | instskip(NEXT) | instid1(SALU_CYCLE_1)
	s_or_b32 s4, s0, s4
	s_and_not1_b32 exec_lo, exec_lo, s4
	s_cbranch_execz .LBB0_30
.LBB0_24:                               ; =>This Inner Loop Header: Depth=1
	s_clause 0x7
	scratch_load_b128 v[6:9], off, off offset:2160
	scratch_load_b128 v[10:13], off, off offset:2176
	;; [unrolled: 1-line block ×8, first 2 shown]
	v_cmp_eq_u32_e64 s0, 1, v124
	v_cmp_eq_u32_e64 s2, 2, v124
	s_delay_alu instid0(VALU_DEP_2) | instskip(SKIP_2) | instid1(VALU_DEP_3)
	v_cndmask_b32_e64 v4, v242, v246, s0
	v_cndmask_b32_e64 v5, v241, v245, s0
	v_cmp_eq_u32_e64 s0, 3, v124
	v_cndmask_b32_e64 v4, v4, v250, s2
	s_delay_alu instid0(VALU_DEP_3) | instskip(SKIP_1) | instid1(VALU_DEP_2)
	v_cndmask_b32_e64 v5, v5, v249, s2
	s_mov_b32 s2, 0
	v_cndmask_b32_e64 v4, v4, v193, s0
	s_delay_alu instid0(VALU_DEP_2) | instskip(SKIP_1) | instid1(VALU_DEP_1)
	v_cndmask_b32_e64 v5, v5, v192, s0
	v_cmp_eq_u32_e64 s0, 4, v124
	v_cndmask_b32_e64 v4, v4, v63, s0
	s_delay_alu instid0(VALU_DEP_3) | instskip(SKIP_2) | instid1(VALU_DEP_1)
	v_cndmask_b32_e64 v5, v5, v62, s0
	v_cmp_eq_u32_e64 s0, 5, v124
	s_waitcnt vmcnt(5)
	v_cndmask_b32_e64 v4, v4, v17, s0
	s_clause 0x7
	scratch_load_b128 v[6:9], off, off offset:2672
	scratch_load_b128 v[10:13], off, off offset:2688
	scratch_load_b128 v[14:17], off, off offset:2704
	scratch_load_b128 v[18:21], off, off offset:2720
	scratch_load_b128 v[22:25], off, off offset:2736
	scratch_load_b128 v[26:29], off, off offset:2752
	scratch_load_b128 v[30:33], off, off offset:2768
	scratch_load_b128 v[34:37], off, off offset:2784
	s_waitcnt vmcnt(5)
	v_cndmask_b32_e64 v5, v5, v16, s0
	s_clause 0x7
	scratch_load_b128 v[6:9], off, off offset:2032
	scratch_load_b128 v[10:13], off, off offset:2048
	scratch_load_b128 v[14:17], off, off offset:2064
	scratch_load_b128 v[18:21], off, off offset:2080
	scratch_load_b128 v[22:25], off, off offset:2096
	scratch_load_b128 v[26:29], off, off offset:2112
	scratch_load_b128 v[30:33], off, off offset:2128
	scratch_load_b128 v[34:37], off, off offset:2144
	v_cmp_eq_u32_e64 s0, 6, v124
	s_waitcnt vmcnt(4)
	s_delay_alu instid0(VALU_DEP_1)
	v_cndmask_b32_e64 v4, v4, v19, s0
	s_clause 0x7
	scratch_load_b128 v[6:9], off, off offset:2544
	scratch_load_b128 v[10:13], off, off offset:2560
	scratch_load_b128 v[14:17], off, off offset:2576
	scratch_load_b128 v[18:21], off, off offset:2592
	scratch_load_b128 v[22:25], off, off offset:2608
	scratch_load_b128 v[26:29], off, off offset:2624
	scratch_load_b128 v[30:33], off, off offset:2640
	scratch_load_b128 v[34:37], off, off offset:2656
	s_waitcnt vmcnt(4)
	v_cndmask_b32_e64 v5, v5, v18, s0
	s_clause 0x7
	scratch_load_b128 v[6:9], off, off offset:1904
	scratch_load_b128 v[10:13], off, off offset:1920
	scratch_load_b128 v[14:17], off, off offset:1936
	scratch_load_b128 v[18:21], off, off offset:1952
	scratch_load_b128 v[22:25], off, off offset:1968
	scratch_load_b128 v[26:29], off, off offset:1984
	scratch_load_b128 v[30:33], off, off offset:2000
	scratch_load_b128 v[34:37], off, off offset:2016
	v_cmp_eq_u32_e64 s0, 7, v124
	s_waitcnt vmcnt(4)
	s_delay_alu instid0(VALU_DEP_1)
	;; [unrolled: 24-line block ×3, first 2 shown]
	v_cndmask_b32_e64 v5, v4, v24, s0
	s_clause 0x7
	scratch_load_b128 v[7:10], off, off offset:2288
	scratch_load_b128 v[11:14], off, off offset:2304
	;; [unrolled: 1-line block ×8, first 2 shown]
	s_waitcnt vmcnt(3)
	v_cndmask_b32_e64 v4, v6, v23, s0
	v_lshl_add_u32 v6, v124, 2, v228
	s_delay_alu instid0(VALU_DEP_2) | instskip(SKIP_2) | instid1(SALU_CYCLE_1)
	v_cmp_ngt_f64_e64 s0, 0, v[4:5]
	scratch_load_b32 v4, v6, off
                                        ; implicit-def: $vgpr5
	s_and_saveexec_b32 s5, s0
	s_xor_b32 s5, exec_lo, s5
	s_cbranch_execnz .LBB0_27
; %bb.25:                               ;   in Loop: Header=BB0_24 Depth=1
	s_and_not1_saveexec_b32 s0, s5
	s_cbranch_execnz .LBB0_28
.LBB0_26:                               ;   in Loop: Header=BB0_24 Depth=1
	s_or_b32 exec_lo, exec_lo, s0
	s_and_saveexec_b32 s0, s2
	s_cbranch_execz .LBB0_23
	s_branch .LBB0_29
.LBB0_27:                               ;   in Loop: Header=BB0_24 Depth=1
	scratch_load_b32 v5, off, off offset:96
                                        ; implicit-def: $vgpr6
	s_waitcnt vmcnt(0)
	v_cmp_eq_u32_e64 s0, -1, v5
	v_mov_b32_e32 v5, 0x60
	s_delay_alu instid0(VALU_DEP_2)
	s_and_b32 s2, s0, exec_lo
	s_and_not1_saveexec_b32 s0, s5
	s_cbranch_execz .LBB0_26
.LBB0_28:                               ;   in Loop: Header=BB0_24 Depth=1
	scratch_load_b32 v10, off, off offset:100
	v_mov_b32_e32 v5, 0x64
	s_or_b32 s2, s2, exec_lo
	s_waitcnt vmcnt(0)
	scratch_store_b32 v6, v10, off
	s_or_b32 exec_lo, exec_lo, s0
	s_and_saveexec_b32 s0, s2
	s_cbranch_execz .LBB0_23
.LBB0_29:                               ;   in Loop: Header=BB0_24 Depth=1
	scratch_store_b32 v5, v124, off
	s_branch .LBB0_23
.LBB0_30:
	s_or_b32 exec_lo, exec_lo, s4
	s_delay_alu instid0(SALU_CYCLE_1)
	s_and_b32 s2, vcc_lo, exec_lo
.LBB0_31:
	s_or_b32 exec_lo, exec_lo, s3
	s_and_saveexec_b32 s0, s1
; %bb.32:
	v_cmp_gt_f64_e32 vcc_lo, 0, v[138:139]
	v_lshlrev_b32_e32 v2, 2, v125
	v_lshlrev_b32_e32 v3, 2, v137
	;; [unrolled: 1-line block ×3, first 2 shown]
	s_delay_alu instid0(VALU_DEP_3) | instskip(NEXT) | instid1(VALU_DEP_3)
	v_add3_u32 v2, 16, v2, 40
	v_add3_u32 v3, 16, v3, 40
	s_delay_alu instid0(VALU_DEP_3) | instskip(SKIP_1) | instid1(SALU_CYCLE_1)
	v_add3_u32 v4, 16, v4, 40
	s_or_b32 s1, vcc_lo, s2
	v_cndmask_b32_e64 v5, v126, -1, s1
	s_clause 0x2
	scratch_store_b32 v2, v137, off
	scratch_store_b32 v3, v39, off
	;; [unrolled: 1-line block ×3, first 2 shown]
; %bb.33:
	s_or_b32 exec_lo, exec_lo, s0
	s_clause 0x8
	scratch_load_b32 v127, off, off offset:96
	scratch_load_b128 v[20:23], off, off offset:880
	scratch_load_b128 v[24:27], off, off offset:896
	;; [unrolled: 1-line block ×8, first 2 shown]
	v_dual_mov_b32 v130, -1 :: v_dual_mov_b32 v83, -1
	v_dual_mov_b32 v84, -1 :: v_dual_mov_b32 v131, -1
	s_waitcnt vmcnt(8)
	v_cmp_eq_u32_e32 vcc_lo, 1, v127
	v_cmp_eq_u32_e64 s0, 2, v127
	s_waitcnt vmcnt(6)
	v_dual_mov_b32 v6, v26 :: v_dual_mov_b32 v7, v27
	v_dual_cndmask_b32 v2, v244, v240 :: v_dual_cndmask_b32 v3, v243, v239
	v_cmp_eq_u32_e32 vcc_lo, 3, v127
	s_delay_alu instid0(VALU_DEP_2) | instskip(NEXT) | instid1(VALU_DEP_3)
	v_cndmask_b32_e64 v2, v2, v238, s0
	v_cndmask_b32_e64 v3, v3, v237, s0
	v_cmp_lt_i32_e64 s0, -1, v127
	s_delay_alu instid0(VALU_DEP_2)
	v_dual_cndmask_b32 v2, v2, v7 :: v_dual_cndmask_b32 v3, v3, v6
	s_clause 0x7
	scratch_load_b128 v[4:7], off, off offset:1264
	scratch_load_b128 v[8:11], off, off offset:1280
	;; [unrolled: 1-line block ×8, first 2 shown]
	v_cmp_eq_u32_e32 vcc_lo, 4, v127
	v_dual_cndmask_b32 v2, v2, v53 :: v_dual_cndmask_b32 v3, v3, v52
	v_cmp_eq_u32_e32 vcc_lo, 5, v127
	s_waitcnt vmcnt(5)
	s_delay_alu instid0(VALU_DEP_2)
	v_cndmask_b32_e32 v2, v2, v15, vcc_lo
	s_clause 0x7
	scratch_load_b128 v[4:7], off, off offset:1776
	scratch_load_b128 v[8:11], off, off offset:1792
	scratch_load_b128 v[12:15], off, off offset:1808
	scratch_load_b128 v[16:19], off, off offset:1824
	scratch_load_b128 v[20:23], off, off offset:1840
	scratch_load_b128 v[24:27], off, off offset:1856
	scratch_load_b128 v[28:31], off, off offset:1872
	scratch_load_b128 v[32:35], off, off offset:1888
	s_waitcnt vmcnt(5)
	v_cndmask_b32_e32 v3, v3, v14, vcc_lo
	s_clause 0x7
	scratch_load_b128 v[4:7], off, off offset:1136
	scratch_load_b128 v[8:11], off, off offset:1152
	scratch_load_b128 v[12:15], off, off offset:1168
	scratch_load_b128 v[16:19], off, off offset:1184
	scratch_load_b128 v[20:23], off, off offset:1200
	scratch_load_b128 v[24:27], off, off offset:1216
	scratch_load_b128 v[28:31], off, off offset:1232
	scratch_load_b128 v[32:35], off, off offset:1248
	v_cmp_eq_u32_e32 vcc_lo, 6, v127
	s_waitcnt vmcnt(4)
	v_cndmask_b32_e32 v2, v2, v17, vcc_lo
	s_clause 0x7
	scratch_load_b128 v[4:7], off, off offset:1648
	scratch_load_b128 v[8:11], off, off offset:1664
	scratch_load_b128 v[12:15], off, off offset:1680
	scratch_load_b128 v[16:19], off, off offset:1696
	scratch_load_b128 v[20:23], off, off offset:1712
	scratch_load_b128 v[24:27], off, off offset:1728
	scratch_load_b128 v[28:31], off, off offset:1744
	scratch_load_b128 v[32:35], off, off offset:1760
	s_waitcnt vmcnt(4)
	v_cndmask_b32_e32 v3, v3, v16, vcc_lo
	s_clause 0x7
	scratch_load_b128 v[14:17], off, off offset:1008
	scratch_load_b128 v[18:21], off, off offset:1024
	scratch_load_b128 v[22:25], off, off offset:1040
	scratch_load_b128 v[26:29], off, off offset:1056
	scratch_load_b128 v[30:33], off, off offset:1072
	scratch_load_b128 v[34:37], off, off offset:1088
	scratch_load_b128 v[38:41], off, off offset:1104
	scratch_load_b128 v[42:45], off, off offset:1120
	v_cmp_eq_u32_e32 vcc_lo, 7, v127
	s_waitcnt vmcnt(4)
	;; [unrolled: 23-line block ×3, first 2 shown]
	v_mov_b32_e32 v18, v31
	s_clause 0x7
	scratch_load_b128 v[19:22], off, off offset:1392
	scratch_load_b128 v[23:26], off, off offset:1408
	;; [unrolled: 1-line block ×8, first 2 shown]
	s_waitcnt vmcnt(3)
	v_dual_cndmask_b32 v129, v2, v18 :: v_dual_cndmask_b32 v128, v3, v35
	v_mov_b32_e32 v2, 0
	v_dual_mov_b32 v3, 0 :: v_dual_mov_b32 v74, v83
	v_mov_b32_e32 v75, v84
	s_and_saveexec_b32 s5, s0
	s_cbranch_execz .LBB0_37
; %bb.34:
	s_clause 0x7
	scratch_load_b128 v[20:23], off, off offset:880
	scratch_load_b128 v[24:27], off, off offset:896
	;; [unrolled: 1-line block ×8, first 2 shown]
	v_dual_mov_b32 v131, -1 :: v_dual_mov_b32 v56, v128
	v_dual_mov_b32 v57, v129 :: v_dual_mov_b32 v54, v18
	v_dual_mov_b32 v130, -1 :: v_dual_mov_b32 v55, v127
	v_dual_mov_b32 v83, -1 :: v_dual_mov_b32 v74, -1
	s_mov_b32 s6, 0
	s_waitcnt vmcnt(3)
	v_dual_mov_b32 v37, v27 :: v_dual_mov_b32 v36, v26
	s_clause 0x7
	scratch_load_b128 v[4:7], off, off offset:1008
	scratch_load_b128 v[8:11], off, off offset:1024
	scratch_load_b128 v[12:15], off, off offset:1040
	scratch_load_b128 v[16:19], off, off offset:1056
	scratch_load_b128 v[20:23], off, off offset:1072
	scratch_load_b128 v[24:27], off, off offset:1088
	scratch_load_b128 v[28:31], off, off offset:1104
	scratch_load_b128 v[32:35], off, off offset:1120
	s_waitcnt vmcnt(0)
	v_mov_b32_e32 v34, v19
	s_clause 0x7
	scratch_load_b128 v[0:3], off, off offset:1136
	scratch_load_b128 v[4:7], off, off offset:1152
	scratch_load_b128 v[8:11], off, off offset:1168
	scratch_load_b128 v[12:15], off, off offset:1184
	scratch_load_b128 v[16:19], off, off offset:1200
	scratch_load_b128 v[20:23], off, off offset:1216
	scratch_load_b128 v[24:27], off, off offset:1232
	scratch_load_b128 v[28:31], off, off offset:1248
	s_waitcnt vmcnt(4)
	v_mov_b32_e32 v35, v13
	;; [unrolled: 11-line block ×6, first 2 shown]
	s_clause 0x7
	scratch_load_b128 v[0:3], off, off offset:1776
	scratch_load_b128 v[4:7], off, off offset:1792
	;; [unrolled: 1-line block ×8, first 2 shown]
.LBB0_35:                               ; =>This Inner Loop Header: Depth=1
	s_waitcnt vmcnt(7)
	v_lshl_add_u32 v2, v55, 2, v228
	scratch_load_b32 v20, v2, off
	s_waitcnt vmcnt(0)
	v_cmp_gt_i32_e32 vcc_lo, 0, v20
	v_cndmask_b32_e32 v21, v20, v127, vcc_lo
	s_delay_alu instid0(VALU_DEP_1) | instskip(SKIP_1) | instid1(VALU_DEP_2)
	v_cmp_eq_u32_e64 s1, 1, v21
	v_cmp_eq_u32_e64 s2, 2, v21
	v_cndmask_b32_e64 v2, v244, v240, s1
	v_cndmask_b32_e64 v3, v243, v239, s1
	v_cmp_eq_u32_e64 s1, 3, v21
	s_delay_alu instid0(VALU_DEP_3) | instskip(NEXT) | instid1(VALU_DEP_3)
	v_cndmask_b32_e64 v2, v2, v238, s2
	v_cndmask_b32_e64 v3, v3, v237, s2
	s_delay_alu instid0(VALU_DEP_2) | instskip(NEXT) | instid1(VALU_DEP_2)
	v_cndmask_b32_e64 v2, v2, v37, s1
	v_cndmask_b32_e64 v3, v3, v36, s1
	v_cmp_eq_u32_e64 s1, 4, v21
	s_delay_alu instid0(VALU_DEP_1) | instskip(NEXT) | instid1(VALU_DEP_3)
	v_cndmask_b32_e64 v2, v2, v53, s1
	v_cndmask_b32_e64 v3, v3, v52, s1
	v_cmp_eq_u32_e64 s1, 5, v21
	s_delay_alu instid0(VALU_DEP_1) | instskip(NEXT) | instid1(VALU_DEP_3)
	;; [unrolled: 4-line block ×5, first 2 shown]
	v_cndmask_b32_e64 v17, v2, v54, s1
	v_cndmask_b32_e64 v16, v3, v32, s1
	v_dual_mov_b32 v2, v56 :: v_dual_mov_b32 v3, v57
	s_delay_alu instid0(VALU_DEP_2) | instskip(SKIP_1) | instid1(VALU_DEP_3)
	v_dual_mov_b32 v57, v17 :: v_dual_mov_b32 v56, v16
	v_cmp_gt_f64_e64 s2, 0, v[16:17]
	v_cmp_le_f64_e64 s1, 0, v[2:3]
	v_cmp_gt_f64_e64 s3, 0, v[2:3]
	v_cmp_le_f64_e64 s4, 0, v[16:17]
	s_delay_alu instid0(VALU_DEP_3) | instskip(NEXT) | instid1(VALU_DEP_1)
	s_and_b32 s1, s1, s2
	s_and_b32 s2, s3, s4
	v_cndmask_b32_e64 v74, v74, v21, s1
	v_cndmask_b32_e64 v131, v131, v21, s2
	;; [unrolled: 1-line block ×4, first 2 shown]
	v_mov_b32_e32 v55, v20
	s_or_b32 s6, vcc_lo, s6
	s_delay_alu instid0(SALU_CYCLE_1)
	s_and_not1_b32 exec_lo, exec_lo, s6
	s_cbranch_execnz .LBB0_35
; %bb.36:
	s_or_b32 exec_lo, exec_lo, s6
.LBB0_37:
	s_delay_alu instid0(SALU_CYCLE_1)
	s_or_b32 exec_lo, exec_lo, s5
	v_dual_mov_b32 v112, v53 :: v_dual_mov_b32 v111, v52
	v_dual_mov_b32 v126, v63 :: v_dual_mov_b32 v125, v62
	v_cmp_lt_i32_e64 s1, -1, v130
	v_dual_mov_b32 v11, -1 :: v_dual_mov_b32 v12, -1
	v_mov_b32_e32 v7, -1
	s_delay_alu instid0(VALU_DEP_3)
	s_and_saveexec_b32 s23, s1
	s_cbranch_execz .LBB0_39
; %bb.38:
	s_clause 0xf
	scratch_load_b128 v[34:37], off, off offset:880
	scratch_load_b128 v[38:41], off, off offset:896
	;; [unrolled: 1-line block ×16, first 2 shown]
	v_cmp_eq_u32_e64 s2, 1, v74
	v_cmp_eq_u32_e64 s3, 2, v74
	;; [unrolled: 1-line block ×5, first 2 shown]
	v_cndmask_b32_e64 v7, v244, v240, s2
	v_cndmask_b32_e64 v10, v243, v239, s2
	v_cmp_eq_u32_e64 s7, 6, v74
	v_cmp_eq_u32_e64 s8, 7, v74
	;; [unrolled: 1-line block ×3, first 2 shown]
	v_cndmask_b32_e64 v7, v7, v238, s3
	v_cndmask_b32_e64 v10, v10, v237, s3
	v_cmp_eq_u32_e64 s10, 1, v130
	v_cmp_eq_u32_e64 s11, 2, v130
	;; [unrolled: 1-line block ×8, first 2 shown]
	s_waitcnt vmcnt(14)
	v_cndmask_b32_e64 v7, v7, v41, s4
	s_waitcnt vmcnt(5)
	v_mov_b32_e32 v12, v53
	s_clause 0x7
	scratch_load_b128 v[42:45], off, off offset:1136
	scratch_load_b128 v[46:49], off, off offset:1152
	;; [unrolled: 1-line block ×8, first 2 shown]
	v_cndmask_b32_e64 v10, v10, v40, s4
	v_cndmask_b32_e64 v7, v7, v112, s5
	s_delay_alu instid0(VALU_DEP_2)
	v_cndmask_b32_e64 v10, v10, v111, s5
	s_waitcnt vmcnt(4)
	v_mov_b32_e32 v13, v55
	s_clause 0x7
	scratch_load_b128 v[42:45], off, off offset:1008
	scratch_load_b128 v[46:49], off, off offset:1024
	;; [unrolled: 1-line block ×8, first 2 shown]
	v_cndmask_b32_e64 v7, v7, v12, s6
	s_delay_alu instid0(VALU_DEP_1)
	v_cndmask_b32_e64 v7, v7, v13, s7
	s_waitcnt vmcnt(4)
	v_mov_b32_e32 v19, v57
	s_clause 0x7
	scratch_load_b128 v[42:45], off, off offset:1776
	scratch_load_b128 v[46:49], off, off offset:1792
	;; [unrolled: 1-line block ×8, first 2 shown]
	s_waitcnt vmcnt(5)
	v_mov_b32_e32 v36, v52
	s_clause 0x7
	scratch_load_b128 v[42:45], off, off offset:1648
	scratch_load_b128 v[46:49], off, off offset:1664
	;; [unrolled: 1-line block ×8, first 2 shown]
	v_cndmask_b32_e64 v7, v7, v19, s8
	v_cndmask_b32_e64 v10, v10, v36, s6
	s_waitcnt vmcnt(4)
	v_mov_b32_e32 v15, v54
	s_clause 0x7
	scratch_load_b128 v[42:45], off, off offset:1520
	scratch_load_b128 v[46:49], off, off offset:1536
	;; [unrolled: 1-line block ×8, first 2 shown]
	s_waitcnt vmcnt(4)
	v_mov_b32_e32 v14, v56
	s_clause 0x7
	scratch_load_b128 v[42:45], off, off offset:2800
	scratch_load_b128 v[46:49], off, off offset:2816
	scratch_load_b128 v[50:53], off, off offset:2832
	scratch_load_b128 v[54:57], off, off offset:2848
	scratch_load_b128 v[58:61], off, off offset:2864
	scratch_load_b128 v[62:65], off, off offset:2880
	scratch_load_b128 v[66:69], off, off offset:2896
	scratch_load_b128 v[70:73], off, off offset:2912
	v_cndmask_b32_e64 v10, v10, v15, s7
	s_delay_alu instid0(VALU_DEP_1)
	v_cndmask_b32_e64 v10, v10, v14, s8
	s_waitcnt vmcnt(3)
	v_mov_b32_e32 v18, v59
	s_clause 0x7
	scratch_load_b128 v[42:45], off, off offset:1392
	scratch_load_b128 v[46:49], off, off offset:1408
	;; [unrolled: 1-line block ×8, first 2 shown]
	s_waitcnt vmcnt(3)
	v_mov_b32_e32 v35, v58
	v_cndmask_b32_e64 v26, v7, v18, s9
	v_cndmask_b32_e64 v7, v244, v240, s10
	s_clause 0x7
	scratch_load_b128 v[42:45], off, off offset:2160
	scratch_load_b128 v[46:49], off, off offset:2176
	;; [unrolled: 1-line block ×8, first 2 shown]
	v_cndmask_b32_e64 v25, v10, v35, s9
	v_cndmask_b32_e64 v10, v243, v239, s10
	;; [unrolled: 1-line block ×3, first 2 shown]
	s_delay_alu instid0(VALU_DEP_3) | instskip(NEXT) | instid1(VALU_DEP_3)
	v_add_f64 v[16:17], -v[25:26], 0
	v_cndmask_b32_e64 v10, v10, v237, s11
	s_delay_alu instid0(VALU_DEP_3) | instskip(NEXT) | instid1(VALU_DEP_2)
	v_cndmask_b32_e64 v7, v7, v41, s12
	v_cndmask_b32_e64 v10, v10, v40, s12
	s_delay_alu instid0(VALU_DEP_2) | instskip(NEXT) | instid1(VALU_DEP_2)
	v_cndmask_b32_e64 v7, v7, v112, s13
	v_cndmask_b32_e64 v10, v10, v111, s13
	s_delay_alu instid0(VALU_DEP_2) | instskip(NEXT) | instid1(VALU_DEP_2)
	;; [unrolled: 3-line block ×4, first 2 shown]
	v_cndmask_b32_e64 v7, v7, v19, s16
	v_cndmask_b32_e64 v10, v10, v14, s16
	s_delay_alu instid0(VALU_DEP_2) | instskip(SKIP_1) | instid1(VALU_DEP_3)
	v_cndmask_b32_e64 v28, v7, v18, s19
	v_cndmask_b32_e64 v7, v242, v246, s10
	;; [unrolled: 1-line block ×4, first 2 shown]
	s_delay_alu instid0(VALU_DEP_3) | instskip(NEXT) | instid1(VALU_DEP_3)
	v_cndmask_b32_e64 v7, v7, v250, s11
	v_add_f64 v[20:21], v[27:28], -v[25:26]
	s_delay_alu instid0(VALU_DEP_3) | instskip(NEXT) | instid1(VALU_DEP_3)
	v_cndmask_b32_e64 v10, v10, v249, s11
	v_cndmask_b32_e64 v7, v7, v193, s12
	s_delay_alu instid0(VALU_DEP_2) | instskip(NEXT) | instid1(VALU_DEP_2)
	v_cndmask_b32_e64 v10, v10, v192, s12
	v_cndmask_b32_e64 v7, v7, v126, s13
	s_delay_alu instid0(VALU_DEP_2) | instskip(SKIP_1) | instid1(VALU_DEP_1)
	v_cndmask_b32_e64 v10, v10, v125, s13
	v_div_scale_f64 v[22:23], null, v[20:21], v[20:21], v[16:17]
	v_rcp_f64_e32 v[29:30], v[22:23]
	s_waitcnt_depctr 0xfff
	v_fma_f64 v[31:32], -v[22:23], v[29:30], 1.0
	s_delay_alu instid0(VALU_DEP_1) | instskip(NEXT) | instid1(VALU_DEP_1)
	v_fma_f64 v[29:30], v[29:30], v[31:32], v[29:30]
	v_fma_f64 v[31:32], -v[22:23], v[29:30], 1.0
	s_delay_alu instid0(VALU_DEP_1) | instskip(SKIP_1) | instid1(VALU_DEP_1)
	v_fma_f64 v[29:30], v[29:30], v[31:32], v[29:30]
	v_div_scale_f64 v[31:32], vcc_lo, v[16:17], v[20:21], v[16:17]
	v_mul_f64 v[33:34], v[31:32], v[29:30]
	s_delay_alu instid0(VALU_DEP_1) | instskip(NEXT) | instid1(VALU_DEP_1)
	v_fma_f64 v[22:23], -v[22:23], v[33:34], v[31:32]
	v_div_fmas_f64 v[22:23], v[22:23], v[29:30], v[33:34]
	s_waitcnt vmcnt(5)
	v_mov_b32_e32 v30, v53
	s_clause 0x7
	scratch_load_b128 v[42:45], off, off offset:2672
	scratch_load_b128 v[46:49], off, off offset:2688
	;; [unrolled: 1-line block ×8, first 2 shown]
	v_div_fixup_f64 v[75:76], v[22:23], v[20:21], v[16:17]
	s_delay_alu instid0(VALU_DEP_1) | instskip(NEXT) | instid1(VALU_DEP_1)
	v_add_f64 v[77:78], -v[75:76], 1.0
	v_mul_f64 v[25:26], v[25:26], v[77:78]
	s_delay_alu instid0(VALU_DEP_1)
	v_fma_f64 v[79:80], v[27:28], v[75:76], v[25:26]
	s_waitcnt vmcnt(5)
	v_mov_b32_e32 v33, v52
	s_clause 0x7
	scratch_load_b128 v[42:45], off, off offset:2032
	scratch_load_b128 v[46:49], off, off offset:2048
	;; [unrolled: 1-line block ×8, first 2 shown]
	v_cndmask_b32_e64 v7, v7, v30, s14
	v_cndmask_b32_e64 v10, v10, v33, s14
	s_waitcnt vmcnt(4)
	v_mov_b32_e32 v29, v55
	s_clause 0x7
	scratch_load_b128 v[42:45], off, off offset:2544
	scratch_load_b128 v[46:49], off, off offset:2560
	;; [unrolled: 1-line block ×8, first 2 shown]
	s_waitcnt vmcnt(4)
	v_mov_b32_e32 v32, v54
	s_clause 0x7
	scratch_load_b128 v[42:45], off, off offset:1904
	scratch_load_b128 v[46:49], off, off offset:1920
	scratch_load_b128 v[50:53], off, off offset:1936
	scratch_load_b128 v[54:57], off, off offset:1952
	scratch_load_b128 v[58:61], off, off offset:1968
	scratch_load_b128 v[62:65], off, off offset:1984
	scratch_load_b128 v[66:69], off, off offset:2000
	scratch_load_b128 v[70:73], off, off offset:2016
	v_cndmask_b32_e64 v7, v7, v29, s15
	v_cndmask_b32_e64 v10, v10, v32, s15
	s_waitcnt vmcnt(4)
	v_mov_b32_e32 v23, v57
	s_clause 0x7
	scratch_load_b128 v[42:45], off, off offset:2416
	scratch_load_b128 v[46:49], off, off offset:2432
	scratch_load_b128 v[50:53], off, off offset:2448
	scratch_load_b128 v[54:57], off, off offset:2464
	scratch_load_b128 v[58:61], off, off offset:2480
	scratch_load_b128 v[62:65], off, off offset:2496
	scratch_load_b128 v[66:69], off, off offset:2512
	scratch_load_b128 v[70:73], off, off offset:2528
	s_waitcnt vmcnt(4)
	v_mov_b32_e32 v31, v56
	s_clause 0x7
	scratch_load_b128 v[42:45], off, off offset:112
	scratch_load_b128 v[46:49], off, off offset:128
	scratch_load_b128 v[50:53], off, off offset:144
	scratch_load_b128 v[54:57], off, off offset:160
	scratch_load_b128 v[58:61], off, off offset:176
	scratch_load_b128 v[62:65], off, off offset:192
	scratch_load_b128 v[66:69], off, off offset:208
	scratch_load_b128 v[70:73], off, off offset:224
	;; [unrolled: 11-line block ×3, first 2 shown]
	v_cndmask_b32_e64 v7, v7, v23, s16
	s_delay_alu instid0(VALU_DEP_1) | instskip(SKIP_1) | instid1(VALU_DEP_1)
	v_cndmask_b32_e64 v17, v7, v22, s19
	v_cndmask_b32_e64 v7, v242, v246, s2
	;; [unrolled: 1-line block ×3, first 2 shown]
	s_delay_alu instid0(VALU_DEP_1) | instskip(NEXT) | instid1(VALU_DEP_1)
	v_cndmask_b32_e64 v7, v7, v193, s4
	v_cndmask_b32_e64 v7, v7, v126, s5
	s_delay_alu instid0(VALU_DEP_1) | instskip(NEXT) | instid1(VALU_DEP_1)
	v_cndmask_b32_e64 v7, v7, v30, s6
	v_cndmask_b32_e64 v7, v7, v29, s7
	;; [unrolled: 3-line block ×3, first 2 shown]
	scratch_load_b32 v7, off, off offset:100
	s_waitcnt vmcnt(4)
	v_mov_b32_e32 v24, v58
	s_clause 0x7
	scratch_load_b128 v[42:45], off, off offset:3576
	scratch_load_b128 v[46:49], off, off offset:3592
	;; [unrolled: 1-line block ×8, first 2 shown]
	v_cndmask_b32_e64 v10, v10, v31, s16
	s_delay_alu instid0(VALU_DEP_1) | instskip(SKIP_1) | instid1(VALU_DEP_1)
	v_cndmask_b32_e64 v16, v10, v24, s19
	v_cndmask_b32_e64 v10, v241, v245, s2
	;; [unrolled: 1-line block ×3, first 2 shown]
	s_delay_alu instid0(VALU_DEP_1) | instskip(NEXT) | instid1(VALU_DEP_1)
	v_cndmask_b32_e64 v10, v10, v192, s4
	v_cndmask_b32_e64 v10, v10, v125, s5
	s_delay_alu instid0(VALU_DEP_1) | instskip(NEXT) | instid1(VALU_DEP_1)
	v_cndmask_b32_e64 v10, v10, v33, s6
	v_cndmask_b32_e64 v10, v10, v32, s7
	;; [unrolled: 3-line block ×3, first 2 shown]
	s_waitcnt vmcnt(8)
	v_cmp_eq_u32_e64 s17, 3, v7
	v_cmp_eq_u32_e32 vcc_lo, 8, v7
	v_cmp_eq_u32_e64 s20, 7, v7
	v_cmp_eq_u32_e64 s21, 6, v7
	v_mul_f64 v[20:21], v[20:21], v[77:78]
	v_cndmask_b32_e64 v124, v41, v80, s17
	v_cndmask_b32_e64 v41, v220, v218, s2
	v_cmp_eq_u32_e64 s22, 5, v7
	v_cndmask_b32_e32 v114, v35, v79, vcc_lo
	v_cndmask_b32_e64 v123, v40, v79, s17
	v_cndmask_b32_e64 v116, v13, v80, s21
	;; [unrolled: 1-line block ×11, first 2 shown]
	v_cmp_eq_u32_e64 s18, 4, v7
	v_cndmask_b32_e64 v41, v41, v184, s5
	s_delay_alu instid0(VALU_DEP_3) | instskip(NEXT) | instid1(VALU_DEP_3)
	v_cndmask_b32_e64 v12, v12, v175, s4
	v_cndmask_b32_e64 v111, v111, v79, s18
	s_delay_alu instid0(VALU_DEP_3) | instskip(SKIP_1) | instid1(VALU_DEP_4)
	v_cndmask_b32_e64 v41, v41, v96, s6
	v_cndmask_b32_e64 v112, v112, v80, s18
	;; [unrolled: 1-line block ×3, first 2 shown]
	s_delay_alu instid0(VALU_DEP_3) | instskip(SKIP_1) | instid1(VALU_DEP_1)
	v_cndmask_b32_e64 v41, v41, v95, s7
	v_fma_f64 v[90:91], v[16:17], v[75:76], v[20:21]
	v_cndmask_b32_e64 v16, v31, v90, s20
	v_cndmask_b32_e64 v17, v32, v90, s21
	;; [unrolled: 1-line block ×3, first 2 shown]
	s_delay_alu instid0(VALU_DEP_4)
	v_cndmask_b32_e64 v21, v30, v91, s22
	v_cndmask_b32_e64 v120, v192, v90, s17
	;; [unrolled: 1-line block ×6, first 2 shown]
	s_waitcnt vmcnt(5)
	v_mov_b32_e32 v82, v53
	s_clause 0x7
	scratch_load_b128 v[42:45], off, off offset:3448
	scratch_load_b128 v[46:49], off, off offset:3464
	;; [unrolled: 1-line block ×8, first 2 shown]
	v_cndmask_b32_e32 v10, v24, v90, vcc_lo
	v_cndmask_b32_e32 v24, v22, v91, vcc_lo
	v_cndmask_b32_e64 v22, v29, v91, s21
	v_cndmask_b32_e64 v12, v12, v82, s6
	s_waitcnt vmcnt(4)
	v_mov_b32_e32 v81, v55
	s_clause 0x7
	scratch_load_b128 v[43:46], off, off offset:3320
	scratch_load_b128 v[47:50], off, off offset:3336
	;; [unrolled: 1-line block ×8, first 2 shown]
	s_waitcnt vmcnt(4)
	v_cndmask_b32_e64 v57, v41, v92, s8
	s_clause 0xf
	scratch_load_b128 v[25:28], off, off offset:3192
	scratch_load_b128 v[29:32], off, off offset:3208
	;; [unrolled: 1-line block ×16, first 2 shown]
	v_cndmask_b32_e64 v12, v12, v81, s7
	s_waitcnt vmcnt(11)
	v_cndmask_b32_e64 v41, v220, v218, s10
	s_waitcnt vmcnt(9)
	v_cndmask_b32_e64 v51, v222, v226, s2
	s_delay_alu instid0(VALU_DEP_2) | instskip(NEXT) | instid1(VALU_DEP_2)
	v_cndmask_b32_e64 v41, v41, v252, s11
	v_cndmask_b32_e64 v51, v51, v224, s3
	s_delay_alu instid0(VALU_DEP_2) | instskip(NEXT) | instid1(VALU_DEP_2)
	v_cndmask_b32_e64 v41, v41, v174, s12
	;; [unrolled: 3-line block ×4, first 2 shown]
	v_cndmask_b32_e64 v51, v51, v146, s6
	s_delay_alu instid0(VALU_DEP_2) | instskip(NEXT) | instid1(VALU_DEP_1)
	v_cndmask_b32_e64 v41, v41, v95, s15
	v_cndmask_b32_e64 v41, v41, v92, s16
	;; [unrolled: 1-line block ×3, first 2 shown]
	s_waitcnt vmcnt(3)
	v_mov_b32_e32 v25, v202
	s_delay_alu instid0(VALU_DEP_2) | instskip(SKIP_1) | instid1(VALU_DEP_3)
	v_cndmask_b32_e64 v45, v12, v42, s9
	v_cndmask_b32_e64 v12, v221, v219, s10
	;; [unrolled: 1-line block ×4, first 2 shown]
	s_delay_alu instid0(VALU_DEP_3) | instskip(NEXT) | instid1(VALU_DEP_3)
	v_cndmask_b32_e64 v12, v12, v253, s11
	v_mul_f64 v[44:45], v[44:45], v[77:78]
	s_delay_alu instid0(VALU_DEP_2) | instskip(NEXT) | instid1(VALU_DEP_1)
	v_cndmask_b32_e64 v12, v12, v175, s12
	v_cndmask_b32_e64 v12, v12, v185, s13
	s_delay_alu instid0(VALU_DEP_1) | instskip(NEXT) | instid1(VALU_DEP_1)
	v_cndmask_b32_e64 v12, v12, v82, s14
	v_cndmask_b32_e64 v12, v12, v81, s15
	s_delay_alu instid0(VALU_DEP_1) | instskip(NEXT) | instid1(VALU_DEP_1)
	v_cndmask_b32_e64 v12, v12, v58, s16
	v_cndmask_b32_e64 v47, v12, v42, s19
	;; [unrolled: 1-line block ×3, first 2 shown]
	v_cmp_eq_u32_e64 s2, 6, v131
	s_delay_alu instid0(VALU_DEP_2) | instskip(SKIP_2) | instid1(VALU_DEP_3)
	v_cndmask_b32_e64 v12, v12, v225, s3
	v_cmp_eq_u32_e64 s3, 4, v131
	v_fma_f64 v[73:74], v[46:47], v[75:76], v[44:45]
	v_cndmask_b32_e64 v12, v12, v98, s4
	v_cmp_eq_u32_e64 s4, 8, v131
	s_delay_alu instid0(VALU_DEP_2) | instskip(SKIP_1) | instid1(VALU_DEP_2)
	v_cndmask_b32_e64 v12, v12, v108, s5
	v_cmp_eq_u32_e64 s5, 7, v131
	v_cndmask_b32_e64 v12, v12, v135, s6
	v_cmp_eq_u32_e64 s6, 5, v131
	v_cndmask_b32_e64 v8, v174, v73, s17
	v_cndmask_b32_e64 v9, v175, v74, s17
	s_clause 0x7
	scratch_load_b128 v[147:150], off, off offset:496
	scratch_load_b128 v[151:154], off, off offset:512
	;; [unrolled: 1-line block ×8, first 2 shown]
	v_cndmask_b32_e32 v46, v25, v73, vcc_lo
	v_cndmask_b32_e64 v49, v58, v74, s20
	v_cndmask_b32_e64 v45, v92, v73, s20
	;; [unrolled: 1-line block ×5, first 2 shown]
	v_cndmask_b32_e32 v50, v42, v74, vcc_lo
	v_cndmask_b32_e64 v19, v185, v74, s18
	s_waitcnt vmcnt(4)
	v_mov_b32_e32 v27, v160
	s_clause 0x7
	scratch_load_b128 v[147:150], off, off offset:752
	scratch_load_b128 v[151:154], off, off offset:768
	;; [unrolled: 1-line block ×8, first 2 shown]
	v_cndmask_b32_e32 v118, v18, v80, vcc_lo
	v_cndmask_b32_e64 v18, v184, v73, s18
	v_cndmask_b32_e64 v12, v12, v27, s7
	s_waitcnt vmcnt(4)
	v_mov_b32_e32 v13, v159
	s_clause 0x7
	scratch_load_b128 v[147:150], off, off offset:368
	scratch_load_b128 v[151:154], off, off offset:384
	;; [unrolled: 1-line block ×8, first 2 shown]
	v_cndmask_b32_e64 v51, v51, v13, s7
	v_cmp_eq_u32_e64 s7, 3, v131
	s_waitcnt vmcnt(4)
	v_mov_b32_e32 v26, v162
	s_clause 0x7
	scratch_load_b128 v[147:150], off, off offset:624
	scratch_load_b128 v[151:154], off, off offset:640
	;; [unrolled: 1-line block ×8, first 2 shown]
	v_cndmask_b32_e64 v12, v12, v26, s8
	s_waitcnt vmcnt(4)
	v_mov_b32_e32 v14, v161
	s_clause 0x7
	scratch_load_b128 v[147:150], off, off offset:240
	scratch_load_b128 v[151:154], off, off offset:256
	;; [unrolled: 1-line block ×8, first 2 shown]
	v_cndmask_b32_e64 v51, v51, v14, s8
	v_cmp_eq_u32_e64 s8, 2, v131
	s_waitcnt vmcnt(3)
	v_mov_b32_e32 v25, v164
	s_clause 0x7
	scratch_load_b128 v[147:150], off, off offset:3056
	scratch_load_b128 v[151:154], off, off offset:3072
	;; [unrolled: 1-line block ×8, first 2 shown]
	v_cndmask_b32_e64 v47, v82, v74, s22
	v_cndmask_b32_e64 v59, v12, v25, s9
	;; [unrolled: 1-line block ×3, first 2 shown]
	s_delay_alu instid0(VALU_DEP_1) | instskip(NEXT) | instid1(VALU_DEP_1)
	v_cndmask_b32_e64 v12, v12, v225, s11
	v_cndmask_b32_e64 v12, v12, v98, s12
	s_delay_alu instid0(VALU_DEP_1) | instskip(NEXT) | instid1(VALU_DEP_1)
	v_cndmask_b32_e64 v12, v12, v108, s13
	v_cndmask_b32_e64 v12, v12, v135, s14
	;; [unrolled: 3-line block ×3, first 2 shown]
	s_waitcnt vmcnt(3)
	v_mov_b32_e32 v28, v163
	s_delay_alu instid0(VALU_DEP_1) | instskip(SKIP_3) | instid1(VALU_DEP_4)
	v_cndmask_b32_e64 v58, v51, v28, s9
	v_cndmask_b32_e64 v51, v222, v226, s10
	v_cmp_eq_u32_e64 s9, 3, v83
	v_cmp_eq_u32_e64 s10, 5, v83
	v_mul_f64 v[56:57], v[58:59], v[77:78]
	s_delay_alu instid0(VALU_DEP_4) | instskip(SKIP_2) | instid1(VALU_DEP_3)
	v_cndmask_b32_e64 v51, v51, v224, s11
	v_cndmask_b32_e64 v59, v12, v25, s19
	v_cmp_eq_u32_e64 s11, 7, v83
	v_cndmask_b32_e64 v51, v51, v97, s12
	v_cmp_eq_u32_e64 s12, 4, v83
	s_delay_alu instid0(VALU_DEP_2) | instskip(SKIP_1) | instid1(VALU_DEP_2)
	v_cndmask_b32_e64 v51, v51, v107, s13
	v_cmp_eq_u32_e64 s13, 6, v83
	v_cndmask_b32_e64 v51, v51, v146, s14
	v_cmp_eq_u32_e64 s14, 8, v83
	s_delay_alu instid0(VALU_DEP_2) | instskip(SKIP_1) | instid1(VALU_DEP_2)
	v_cndmask_b32_e64 v51, v51, v13, s15
	v_cmp_eq_u32_e64 s15, 1, v83
	v_cndmask_b32_e64 v51, v51, v14, s16
	v_cmp_eq_u32_e64 s16, 2, v83
	s_delay_alu instid0(VALU_DEP_2) | instskip(SKIP_1) | instid1(VALU_DEP_2)
	v_cndmask_b32_e64 v58, v51, v28, s19
	v_cmp_eq_u32_e64 s19, 1, v131
	v_fma_f64 v[75:76], v[58:59], v[75:76], v[56:57]
	s_delay_alu instid0(VALU_DEP_1) | instskip(SKIP_1) | instid1(VALU_DEP_3)
	v_cndmask_b32_e32 v60, v25, v76, vcc_lo
	v_lshlrev_b32_e32 v12, 2, v7
	v_cndmask_b32_e64 v55, v14, v75, s20
	v_cndmask_b32_e64 v54, v13, v75, s21
	;; [unrolled: 1-line block ×4, first 2 shown]
	v_add3_u32 v12, 16, v12, 40
	v_cmp_eq_u32_e64 s20, 1, v7
	v_cmp_eq_u32_e64 s21, 0, v7
	v_cndmask_b32_e64 v51, v146, v75, s22
	v_cndmask_b32_e64 v57, v135, v76, s22
	scratch_load_b32 v12, v12, off
	v_cmp_eq_u32_e64 s22, 2, v7
	v_cndmask_b32_e64 v61, v239, v79, s20
	v_cndmask_b32_e64 v64, v240, v80, s20
	;; [unrolled: 1-line block ×6, first 2 shown]
	v_cndmask_b32_e32 v56, v28, v75, vcc_lo
	v_cndmask_b32_e64 v71, v63, v64, s15
	v_cndmask_b32_e64 v72, v62, v61, s15
	;; [unrolled: 1-line block ×41, first 2 shown]
	v_add_f64 v[79:80], -v[71:72], 0
	v_cndmask_b32_e64 v105, v227, v76, s20
	v_add_f64 v[81:82], v[77:78], -v[71:72]
	v_cndmask_b32_e64 v106, v223, v76, s21
	v_cndmask_b32_e64 v53, v65, v66, s19
	;; [unrolled: 1-line block ×12, first 2 shown]
	s_delay_alu instid0(VALU_DEP_1) | instskip(SKIP_2) | instid1(VALU_DEP_2)
	v_cndmask_b32_e64 v100, v100, v93, s8
	v_div_scale_f64 v[83:84], null, v[81:82], v[81:82], v[79:80]
	v_div_scale_f64 v[89:90], vcc_lo, v[79:80], v[81:82], v[79:80]
	v_rcp_f64_e32 v[85:86], v[83:84]
	s_waitcnt_depctr 0xfff
	v_fma_f64 v[87:88], -v[83:84], v[85:86], 1.0
	s_delay_alu instid0(VALU_DEP_1) | instskip(NEXT) | instid1(VALU_DEP_1)
	v_fma_f64 v[85:86], v[85:86], v[87:88], v[85:86]
	v_fma_f64 v[87:88], -v[83:84], v[85:86], 1.0
	s_delay_alu instid0(VALU_DEP_1) | instskip(NEXT) | instid1(VALU_DEP_1)
	v_fma_f64 v[85:86], v[85:86], v[87:88], v[85:86]
	v_mul_f64 v[87:88], v[89:90], v[85:86]
	s_waitcnt vmcnt(0)
	v_lshlrev_b32_e32 v6, 2, v12
	s_delay_alu instid0(VALU_DEP_1) | instskip(SKIP_4) | instid1(VALU_DEP_3)
	v_add3_u32 v6, 16, v6, 40
	scratch_load_b32 v6, v6, off
	v_fma_f64 v[83:84], -v[83:84], v[87:88], v[89:90]
	v_cndmask_b32_e64 v90, v219, v74, s20
	v_cndmask_b32_e64 v89, v253, v74, s22
	v_div_fmas_f64 v[83:84], v[83:84], v[85:86], v[87:88]
	v_cndmask_b32_e64 v85, v242, v91, s21
	v_cndmask_b32_e64 v87, v218, v73, s20
	;; [unrolled: 1-line block ×4, first 2 shown]
	v_cmp_eq_u32_e32 vcc_lo, 3, v12
	s_delay_alu instid0(VALU_DEP_3) | instskip(NEXT) | instid1(VALU_DEP_1)
	v_cndmask_b32_e64 v73, v88, v87, s19
	v_cndmask_b32_e64 v104, v73, v86, s8
	v_div_fixup_f64 v[79:80], v[83:84], v[81:82], v[79:80]
	v_cndmask_b32_e64 v84, v246, v91, s20
	v_cndmask_b32_e64 v83, v250, v91, s22
	;; [unrolled: 1-line block ×37, first 2 shown]
	v_add_f64 v[0:1], -v[79:80], 1.0
	v_cndmask_b32_e64 v74, v74, v51, s10
	v_cndmask_b32_e64 v73, v73, v57, s10
	;; [unrolled: 1-line block ×15, first 2 shown]
	s_delay_alu instid0(VALU_DEP_4) | instskip(NEXT) | instid1(VALU_DEP_4)
	v_cndmask_b32_e64 v70, v70, v46, s14
	v_cndmask_b32_e64 v73, v73, v60, s14
	s_delay_alu instid0(VALU_DEP_4)
	v_cndmask_b32_e64 v75, v75, v23, s5
	v_mul_f64 v[42:43], v[42:43], v[0:1]
	v_mul_f64 v[52:53], v[71:72], v[0:1]
	v_cndmask_b32_e64 v72, v102, v119, s3
	v_cndmask_b32_e64 v71, v101, v50, s14
	;; [unrolled: 1-line block ×3, first 2 shown]
	s_delay_alu instid0(VALU_DEP_3) | instskip(NEXT) | instid1(VALU_DEP_3)
	v_cndmask_b32_e64 v72, v72, v20, s6
	v_mul_f64 v[70:71], v[70:71], v[0:1]
	s_delay_alu instid0(VALU_DEP_3) | instskip(NEXT) | instid1(VALU_DEP_3)
	v_cndmask_b32_e64 v101, v101, v19, s3
	v_cndmask_b32_e64 v102, v72, v17, s2
	;; [unrolled: 1-line block ×4, first 2 shown]
	s_delay_alu instid0(VALU_DEP_3) | instskip(NEXT) | instid1(VALU_DEP_3)
	v_cndmask_b32_e64 v102, v102, v16, s5
	v_mul_f64 v[0:1], v[72:73], v[0:1]
	s_delay_alu instid0(VALU_DEP_3)
	v_cndmask_b32_e64 v74, v74, v18, s3
	v_cndmask_b32_e64 v73, v75, v24, s4
	;; [unrolled: 1-line block ×7, first 2 shown]
	s_delay_alu instid0(VALU_DEP_1)
	v_cndmask_b32_e64 v74, v74, v44, s2
	v_fma_f64 v[72:73], v[72:73], v[79:80], v[42:43]
	v_cndmask_b32_e64 v42, v75, v82, s3
	v_cndmask_b32_e64 v75, v100, v48, s2
	;; [unrolled: 1-line block ×4, first 2 shown]
	v_cmp_eq_u32_e64 s3, 2, v12
	v_cndmask_b32_e64 v42, v42, v57, s6
	v_cndmask_b32_e64 v76, v75, v49, s5
	v_fma_f64 v[74:75], v[77:78], v[79:80], v[52:53]
	v_cndmask_b32_e64 v43, v43, v51, s6
	s_delay_alu instid0(VALU_DEP_4) | instskip(NEXT) | instid1(VALU_DEP_2)
	v_cndmask_b32_e64 v52, v42, v58, s2
	v_cndmask_b32_e64 v53, v43, v54, s2
	;; [unrolled: 1-line block ×3, first 2 shown]
	s_delay_alu instid0(VALU_DEP_3) | instskip(SKIP_1) | instid1(VALU_DEP_4)
	v_cndmask_b32_e64 v52, v52, v59, s5
	v_cmp_eq_u32_e64 s2, 4, v12
	v_cndmask_b32_e64 v53, v53, v55, s5
	v_cmp_eq_u32_e64 s5, 0, v12
	v_dual_cndmask_b32 v193, v122, v73 :: v_dual_cndmask_b32 v192, v120, v72
	s_delay_alu instid0(VALU_DEP_4)
	v_cndmask_b32_e64 v126, v121, v73, s2
	v_cndmask_b32_e64 v125, v119, v72, s2
	;; [unrolled: 1-line block ×6, first 2 shown]
	v_cndmask_b32_e32 v33, v123, v74, vcc_lo
	v_cndmask_b32_e64 v42, v100, v46, s4
	v_cndmask_b32_e32 v34, v124, v75, vcc_lo
	v_cndmask_b32_e64 v112, v112, v75, s2
	v_cndmask_b32_e64 v111, v111, v74, s2
	;; [unrolled: 1-line block ×3, first 2 shown]
	v_fma_f64 v[70:71], v[42:43], v[79:80], v[70:71]
	v_cndmask_b32_e64 v43, v52, v60, s4
	v_cndmask_b32_e64 v42, v53, v56, s4
	v_cmp_eq_u32_e64 s4, 1, v12
	v_cndmask_b32_e64 v237, v68, v74, s3
	v_cndmask_b32_e64 v244, v63, v75, s5
	;; [unrolled: 1-line block ×3, first 2 shown]
	v_fma_f64 v[76:77], v[42:43], v[79:80], v[0:1]
	v_cndmask_b32_e64 v246, v84, v73, s4
	v_cndmask_b32_e64 v245, v66, v72, s4
	;; [unrolled: 1-line block ×4, first 2 shown]
	v_dual_cndmask_b32 v175, v9, v71 :: v_dual_cndmask_b32 v174, v8, v70
	v_cndmask_b32_e64 v184, v18, v70, s2
	v_cndmask_b32_e64 v185, v19, v71, s2
	;; [unrolled: 1-line block ×5, first 2 shown]
	v_cndmask_b32_e32 v98, v96, v77, vcc_lo
	v_cndmask_b32_e32 v97, v92, v76, vcc_lo
	v_cmp_eq_u32_e32 vcc_lo, 8, v12
	v_cndmask_b32_e64 v218, v87, v70, s4
	v_cndmask_b32_e64 v108, v82, v77, s2
	;; [unrolled: 1-line block ×3, first 2 shown]
	s_waitcnt vmcnt(0)
	s_clause 0x8
	scratch_store_b32 off, v6, off offset:100
	scratch_store_b128 off, v[27:30], off offset:880
	scratch_store_b128 off, v[31:34], off offset:896
	;; [unrolled: 1-line block ×8, first 2 shown]
	v_cndmask_b32_e32 v18, v24, v73, vcc_lo
	v_cndmask_b32_e64 v225, v99, v77, s3
	v_cndmask_b32_e64 v224, v93, v76, s3
	;; [unrolled: 1-line block ×4, first 2 shown]
	v_cmp_eq_u32_e64 s2, 7, v12
	v_cmp_eq_u32_e64 s3, 6, v12
	;; [unrolled: 1-line block ×3, first 2 shown]
	v_cndmask_b32_e64 v221, v91, v71, s5
	v_cndmask_b32_e64 v220, v88, v70, s5
	;; [unrolled: 1-line block ×4, first 2 shown]
	s_clause 0x7
	scratch_store_b128 off, v[1:4], off offset:112
	scratch_store_b128 off, v[5:8], off offset:128
	;; [unrolled: 1-line block ×8, first 2 shown]
	v_cndmask_b32_e64 v92, v45, v70, s2
	v_cndmask_b32_e64 v95, v44, v70, s3
	;; [unrolled: 1-line block ×5, first 2 shown]
	v_cndmask_b32_e32 v18, v10, v72, vcc_lo
	s_clause 0x7
	scratch_store_b128 off, v[2:5], off offset:2288
	scratch_store_b128 off, v[6:9], off offset:2304
	scratch_store_b128 off, v[10:13], off offset:2320
	scratch_store_b128 off, v[14:17], off offset:2336
	scratch_store_b128 off, v[18:21], off offset:2352
	scratch_store_b128 off, v[22:25], off offset:2368
	scratch_store_b128 off, v[26:29], off offset:2384
	scratch_store_b128 off, v[30:33], off offset:2400
	v_cndmask_b32_e64 v15, v23, v73, s2
	s_clause 0x7
	scratch_store_b128 off, v[0:3], off offset:1904
	scratch_store_b128 off, v[4:7], off offset:1920
	scratch_store_b128 off, v[8:11], off offset:1936
	scratch_store_b128 off, v[12:15], off offset:1952
	scratch_store_b128 off, v[16:19], off offset:1968
	scratch_store_b128 off, v[20:23], off offset:1984
	scratch_store_b128 off, v[24:27], off offset:2000
	scratch_store_b128 off, v[28:31], off offset:2016
	v_cndmask_b32_e64 v14, v16, v72, s2
	;; [unrolled: 10-line block ×6, first 2 shown]
	s_clause 0x7
	scratch_store_b128 off, v[0:3], off offset:2672
	scratch_store_b128 off, v[4:7], off offset:2688
	;; [unrolled: 1-line block ×8, first 2 shown]
	v_cndmask_b32_e32 v17, v118, v75, vcc_lo
	s_clause 0x7
	scratch_store_b128 off, v[0:3], off offset:2800
	scratch_store_b128 off, v[4:7], off offset:2816
	;; [unrolled: 1-line block ×8, first 2 shown]
	v_cndmask_b32_e32 v16, v114, v74, vcc_lo
	s_clause 0x7
	scratch_store_b128 off, v[0:3], off offset:1392
	scratch_store_b128 off, v[4:7], off offset:1408
	scratch_store_b128 off, v[8:11], off offset:1424
	scratch_store_b128 off, v[12:15], off offset:1440
	scratch_store_b128 off, v[16:19], off offset:1456
	scratch_store_b128 off, v[20:23], off offset:1472
	scratch_store_b128 off, v[24:27], off offset:1488
	scratch_store_b128 off, v[28:31], off offset:1504
	v_cndmask_b32_e64 v16, v117, v75, s2
	s_clause 0x7
	scratch_store_b128 off, v[1:4], off offset:1008
	scratch_store_b128 off, v[5:8], off offset:1024
	scratch_store_b128 off, v[9:12], off offset:1040
	scratch_store_b128 off, v[13:16], off offset:1056
	scratch_store_b128 off, v[17:20], off offset:1072
	scratch_store_b128 off, v[21:24], off offset:1088
	scratch_store_b128 off, v[25:28], off offset:1104
	scratch_store_b128 off, v[29:32], off offset:1120
	v_cndmask_b32_e64 v14, v113, v74, s2
	;; [unrolled: 10-line block ×6, first 2 shown]
	s_clause 0x7
	scratch_store_b128 off, v[0:3], off offset:1776
	scratch_store_b128 off, v[4:7], off offset:1792
	;; [unrolled: 1-line block ×8, first 2 shown]
	v_cndmask_b32_e32 v17, v50, v71, vcc_lo
	s_clause 0x7
	scratch_store_b128 off, v[0:3], off offset:3192
	scratch_store_b128 off, v[4:7], off offset:3208
	;; [unrolled: 1-line block ×8, first 2 shown]
	v_cndmask_b32_e32 v16, v46, v70, vcc_lo
	s_clause 0x7
	scratch_store_b128 off, v[0:3], off offset:2928
	scratch_store_b128 off, v[4:7], off offset:2944
	scratch_store_b128 off, v[8:11], off offset:2960
	scratch_store_b128 off, v[12:15], off offset:2976
	scratch_store_b128 off, v[16:19], off offset:2992
	scratch_store_b128 off, v[20:23], off offset:3008
	scratch_store_b128 off, v[24:27], off offset:3024
	scratch_store_b128 off, v[28:31], off offset:3040
	v_cndmask_b32_e64 v16, v49, v71, s2
	s_clause 0x7
	scratch_store_b128 off, v[1:4], off offset:3320
	scratch_store_b128 off, v[5:8], off offset:3336
	scratch_store_b128 off, v[9:12], off offset:3352
	scratch_store_b128 off, v[13:16], off offset:3368
	scratch_store_b128 off, v[17:20], off offset:3384
	scratch_store_b128 off, v[21:24], off offset:3400
	scratch_store_b128 off, v[25:28], off offset:3416
	scratch_store_b128 off, v[29:32], off offset:3432
	v_cndmask_b32_e64 v16, v48, v71, s3
	;; [unrolled: 10-line block ×3, first 2 shown]
	s_clause 0x7
	scratch_store_b128 off, v[5:8], off offset:3576
	scratch_store_b128 off, v[9:12], off offset:3592
	scratch_store_b128 off, v[13:16], off offset:3608
	scratch_store_b128 off, v[17:20], off offset:3624
	scratch_store_b128 off, v[21:24], off offset:3640
	scratch_store_b128 off, v[25:28], off offset:3656
	scratch_store_b128 off, v[29:32], off offset:3672
	scratch_store_b128 off, v[33:36], off offset:3688
	v_cndmask_b32_e32 v17, v60, v77, vcc_lo
	s_clause 0x7
	scratch_store_b128 off, v[0:3], off offset:240
	scratch_store_b128 off, v[4:7], off offset:256
	;; [unrolled: 1-line block ×8, first 2 shown]
	v_cndmask_b32_e32 v16, v56, v76, vcc_lo
	s_clause 0x7
	scratch_store_b128 off, v[0:3], off offset:3056
	scratch_store_b128 off, v[4:7], off offset:3072
	scratch_store_b128 off, v[8:11], off offset:3088
	scratch_store_b128 off, v[12:15], off offset:3104
	scratch_store_b128 off, v[16:19], off offset:3120
	scratch_store_b128 off, v[20:23], off offset:3136
	scratch_store_b128 off, v[24:27], off offset:3152
	scratch_store_b128 off, v[28:31], off offset:3168
	v_cndmask_b32_e64 v16, v59, v77, s2
	s_clause 0x7
	scratch_store_b128 off, v[1:4], off offset:368
	scratch_store_b128 off, v[5:8], off offset:384
	scratch_store_b128 off, v[9:12], off offset:400
	scratch_store_b128 off, v[13:16], off offset:416
	scratch_store_b128 off, v[17:20], off offset:432
	scratch_store_b128 off, v[21:24], off offset:448
	scratch_store_b128 off, v[25:28], off offset:464
	scratch_store_b128 off, v[29:32], off offset:480
	v_cndmask_b32_e64 v14, v55, v76, s2
	;; [unrolled: 10-line block ×4, first 2 shown]
	s_clause 0x7
	scratch_store_b128 off, v[1:4], off offset:752
	scratch_store_b128 off, v[5:8], off offset:768
	;; [unrolled: 1-line block ×8, first 2 shown]
.LBB0_39:
	s_or_b32 exec_lo, exec_lo, s23
	s_mov_b32 s2, 0
	scratch_store_b32 off, v11, off offset:96
	s_mov_b32 s3, exec_lo
	s_clause 0x7
	scratch_load_b128 v[20:23], off, off offset:3192
	scratch_load_b128 v[24:27], off, off offset:3208
	;; [unrolled: 1-line block ×8, first 2 shown]
	v_dual_mov_b32 v16, v111 :: v_dual_mov_b32 v17, v112
	s_and_b32 s0, s3, s0
	s_waitcnt vmcnt(3)
	v_mov_b32_e32 v87, v37
	s_clause 0x7
	scratch_load_b128 v[20:23], off, off offset:3320
	scratch_load_b128 v[24:27], off, off offset:3336
	scratch_load_b128 v[28:31], off, off offset:3352
	scratch_load_b128 v[32:35], off, off offset:3368
	scratch_load_b128 v[36:39], off, off offset:3384
	scratch_load_b128 v[40:43], off, off offset:3400
	scratch_load_b128 v[44:47], off, off offset:3416
	scratch_load_b128 v[48:51], off, off offset:3432
	s_waitcnt vmcnt(4)
	v_mov_b32_e32 v88, v35
	s_clause 0x7
	scratch_load_b128 v[20:23], off, off offset:3448
	scratch_load_b128 v[24:27], off, off offset:3464
	scratch_load_b128 v[28:31], off, off offset:3480
	scratch_load_b128 v[32:35], off, off offset:3496
	scratch_load_b128 v[36:39], off, off offset:3512
	scratch_load_b128 v[40:43], off, off offset:3528
	scratch_load_b128 v[44:47], off, off offset:3544
	scratch_load_b128 v[48:51], off, off offset:3560
	;; [unrolled: 11-line block ×3, first 2 shown]
	scratch_load_b128 v[36:39], off, off offset:2928
	scratch_load_b128 v[40:43], off, off offset:2944
	scratch_load_b128 v[44:47], off, off offset:2960
	scratch_load_b128 v[48:51], off, off offset:2976
	scratch_load_b128 v[52:55], off, off offset:2992
	scratch_load_b128 v[56:59], off, off offset:3008
	scratch_load_b128 v[60:63], off, off offset:3024
	scratch_load_b128 v[64:67], off, off offset:3040
	s_waitcnt vmcnt(13)
	v_mov_b32_e32 v90, v31
	s_mov_b32 exec_lo, s0
	s_cbranch_execz .LBB0_49
; %bb.40:
	v_cmp_gt_f64_e32 vcc_lo, 0, v[128:129]
	s_mov_b32 s4, 0
	s_branch .LBB0_42
.LBB0_41:                               ;   in Loop: Header=BB0_42 Depth=1
	s_or_b32 exec_lo, exec_lo, s0
	s_waitcnt vmcnt(0)
	v_cmp_gt_i32_e64 s0, 0, v4
	v_mov_b32_e32 v127, v4
	s_delay_alu instid0(VALU_DEP_2) | instskip(NEXT) | instid1(SALU_CYCLE_1)
	s_or_b32 s4, s0, s4
	s_and_not1_b32 exec_lo, exec_lo, s4
	s_cbranch_execz .LBB0_48
.LBB0_42:                               ; =>This Inner Loop Header: Depth=1
	s_clause 0x7
	scratch_load_b128 v[20:23], off, off offset:880
	scratch_load_b128 v[24:27], off, off offset:896
	;; [unrolled: 1-line block ×8, first 2 shown]
	v_cmp_eq_u32_e64 s0, 1, v127
	v_cmp_eq_u32_e64 s2, 2, v127
	s_delay_alu instid0(VALU_DEP_2) | instskip(SKIP_2) | instid1(VALU_DEP_3)
	v_cndmask_b32_e64 v4, v244, v240, s0
	v_cndmask_b32_e64 v5, v243, v239, s0
	v_cmp_eq_u32_e64 s0, 3, v127
	v_cndmask_b32_e64 v4, v4, v238, s2
	s_delay_alu instid0(VALU_DEP_3)
	v_cndmask_b32_e64 v5, v5, v237, s2
	s_mov_b32 s2, 0
	s_waitcnt vmcnt(6)
	v_dual_mov_b32 v10, v26 :: v_dual_mov_b32 v11, v27
	s_clause 0x7
	scratch_load_b128 v[18:21], off, off offset:1264
	scratch_load_b128 v[22:25], off, off offset:1280
	;; [unrolled: 1-line block ×8, first 2 shown]
	v_cndmask_b32_e64 v5, v5, v10, s0
	v_cndmask_b32_e64 v4, v4, v11, s0
	v_cmp_eq_u32_e64 s0, 4, v127
	s_delay_alu instid0(VALU_DEP_1) | instskip(NEXT) | instid1(VALU_DEP_4)
	v_cndmask_b32_e64 v4, v4, v17, s0
	v_cndmask_b32_e64 v5, v5, v16, s0
	v_cmp_eq_u32_e64 s0, 5, v127
	s_waitcnt vmcnt(5)
	s_delay_alu instid0(VALU_DEP_1)
	v_cndmask_b32_e64 v4, v4, v29, s0
	s_clause 0x7
	scratch_load_b128 v[18:21], off, off offset:1776
	scratch_load_b128 v[22:25], off, off offset:1792
	scratch_load_b128 v[26:29], off, off offset:1808
	scratch_load_b128 v[30:33], off, off offset:1824
	scratch_load_b128 v[34:37], off, off offset:1840
	scratch_load_b128 v[38:41], off, off offset:1856
	scratch_load_b128 v[42:45], off, off offset:1872
	scratch_load_b128 v[46:49], off, off offset:1888
	s_waitcnt vmcnt(5)
	v_cndmask_b32_e64 v5, v5, v28, s0
	s_clause 0x7
	scratch_load_b128 v[18:21], off, off offset:1136
	scratch_load_b128 v[22:25], off, off offset:1152
	scratch_load_b128 v[26:29], off, off offset:1168
	scratch_load_b128 v[30:33], off, off offset:1184
	scratch_load_b128 v[34:37], off, off offset:1200
	scratch_load_b128 v[38:41], off, off offset:1216
	scratch_load_b128 v[42:45], off, off offset:1232
	scratch_load_b128 v[46:49], off, off offset:1248
	v_cmp_eq_u32_e64 s0, 6, v127
	s_waitcnt vmcnt(4)
	s_delay_alu instid0(VALU_DEP_1)
	v_cndmask_b32_e64 v4, v4, v31, s0
	s_clause 0x7
	scratch_load_b128 v[18:21], off, off offset:1648
	scratch_load_b128 v[22:25], off, off offset:1664
	scratch_load_b128 v[26:29], off, off offset:1680
	scratch_load_b128 v[30:33], off, off offset:1696
	scratch_load_b128 v[34:37], off, off offset:1712
	scratch_load_b128 v[38:41], off, off offset:1728
	scratch_load_b128 v[42:45], off, off offset:1744
	scratch_load_b128 v[46:49], off, off offset:1760
	s_waitcnt vmcnt(4)
	v_cndmask_b32_e64 v5, v5, v30, s0
	s_clause 0x7
	scratch_load_b128 v[18:21], off, off offset:1008
	scratch_load_b128 v[22:25], off, off offset:1024
	scratch_load_b128 v[26:29], off, off offset:1040
	scratch_load_b128 v[30:33], off, off offset:1056
	scratch_load_b128 v[34:37], off, off offset:1072
	scratch_load_b128 v[38:41], off, off offset:1088
	scratch_load_b128 v[42:45], off, off offset:1104
	scratch_load_b128 v[46:49], off, off offset:1120
	;; [unrolled: 24-line block ×3, first 2 shown]
	v_cmp_eq_u32_e64 s0, 8, v127
	s_waitcnt vmcnt(3)
	s_delay_alu instid0(VALU_DEP_1)
	v_cndmask_b32_e64 v5, v4, v35, s0
	s_clause 0x7
	scratch_load_b128 v[18:21], off, off offset:1392
	scratch_load_b128 v[22:25], off, off offset:1408
	;; [unrolled: 1-line block ×8, first 2 shown]
	s_waitcnt vmcnt(3)
	v_cndmask_b32_e64 v4, v6, v34, s0
	v_lshl_add_u32 v6, v127, 2, v228
	s_delay_alu instid0(VALU_DEP_2) | instskip(SKIP_2) | instid1(SALU_CYCLE_1)
	v_cmp_ngt_f64_e64 s0, 0, v[4:5]
	scratch_load_b32 v4, v6, off
                                        ; implicit-def: $vgpr5
	s_and_saveexec_b32 s5, s0
	s_xor_b32 s5, exec_lo, s5
	s_cbranch_execnz .LBB0_45
; %bb.43:                               ;   in Loop: Header=BB0_42 Depth=1
	s_and_not1_saveexec_b32 s0, s5
	s_cbranch_execnz .LBB0_46
.LBB0_44:                               ;   in Loop: Header=BB0_42 Depth=1
	s_or_b32 exec_lo, exec_lo, s0
	s_and_saveexec_b32 s0, s2
	s_cbranch_execz .LBB0_41
	s_branch .LBB0_47
.LBB0_45:                               ;   in Loop: Header=BB0_42 Depth=1
	scratch_load_b32 v5, off, off offset:96
                                        ; implicit-def: $vgpr6
	s_waitcnt vmcnt(0)
	v_cmp_eq_u32_e64 s0, -1, v5
	v_mov_b32_e32 v5, 0x60
	s_delay_alu instid0(VALU_DEP_2)
	s_and_b32 s2, s0, exec_lo
	s_and_not1_saveexec_b32 s0, s5
	s_cbranch_execz .LBB0_44
.LBB0_46:                               ;   in Loop: Header=BB0_42 Depth=1
	scratch_load_b32 v10, off, off offset:100
	v_mov_b32_e32 v5, 0x64
	s_or_b32 s2, s2, exec_lo
	s_waitcnt vmcnt(0)
	scratch_store_b32 v6, v10, off
	s_or_b32 exec_lo, exec_lo, s0
	s_and_saveexec_b32 s0, s2
	s_cbranch_execz .LBB0_41
.LBB0_47:                               ;   in Loop: Header=BB0_42 Depth=1
	scratch_store_b32 v5, v127, off
	s_branch .LBB0_41
.LBB0_48:
	s_or_b32 exec_lo, exec_lo, s4
	s_delay_alu instid0(SALU_CYCLE_1)
	s_and_b32 s2, vcc_lo, exec_lo
.LBB0_49:
	s_or_b32 exec_lo, exec_lo, s3
	s_and_saveexec_b32 s0, s1
; %bb.50:
	v_cmp_gt_f64_e32 vcc_lo, 0, v[2:3]
	v_lshlrev_b32_e32 v2, 2, v130
	v_lshlrev_b32_e32 v3, 2, v7
	;; [unrolled: 1-line block ×3, first 2 shown]
	s_delay_alu instid0(VALU_DEP_3) | instskip(NEXT) | instid1(VALU_DEP_3)
	v_add3_u32 v2, 16, v2, 40
	v_add3_u32 v3, 16, v3, 40
	s_delay_alu instid0(VALU_DEP_3) | instskip(SKIP_1) | instid1(SALU_CYCLE_1)
	v_add3_u32 v4, 16, v4, 40
	s_or_b32 s1, vcc_lo, s2
	v_cndmask_b32_e64 v5, v131, -1, s1
	s_clause 0x2
	scratch_store_b32 v2, v7, off
	scratch_store_b32 v3, v12, off
	;; [unrolled: 1-line block ×3, first 2 shown]
; %bb.51:
	s_or_b32 exec_lo, exec_lo, s0
	scratch_load_b32 v115, off, off offset:96
	v_mov_b32_e32 v83, -1
	v_dual_mov_b32 v84, -1 :: v_dual_mov_b32 v109, 0
	v_mov_b32_e32 v110, 0
	s_delay_alu instid0(VALU_DEP_3) | instskip(NEXT) | instid1(VALU_DEP_3)
	v_dual_mov_b32 v10, v83 :: v_dual_mov_b32 v117, -1
	v_dual_mov_b32 v11, v84 :: v_dual_mov_b32 v116, -1
	s_waitcnt vmcnt(0)
	v_cmp_eq_u32_e32 vcc_lo, 1, v115
	v_cmp_eq_u32_e64 s0, 2, v115
	v_dual_cndmask_b32 v2, v221, v219 :: v_dual_cndmask_b32 v3, v220, v218
	v_cmp_eq_u32_e32 vcc_lo, 3, v115
	s_delay_alu instid0(VALU_DEP_2) | instskip(NEXT) | instid1(VALU_DEP_3)
	v_cndmask_b32_e64 v2, v2, v253, s0
	v_cndmask_b32_e64 v3, v3, v252, s0
	v_cmp_lt_i32_e64 s0, -1, v115
	s_delay_alu instid0(VALU_DEP_2) | instskip(SKIP_1) | instid1(VALU_DEP_2)
	v_dual_cndmask_b32 v2, v2, v175 :: v_dual_cndmask_b32 v3, v3, v174
	v_cmp_eq_u32_e32 vcc_lo, 4, v115
	v_dual_cndmask_b32 v2, v2, v185 :: v_dual_cndmask_b32 v3, v3, v184
	v_cmp_eq_u32_e32 vcc_lo, 5, v115
	s_delay_alu instid0(VALU_DEP_2) | instskip(SKIP_1) | instid1(VALU_DEP_2)
	v_dual_cndmask_b32 v2, v2, v90 :: v_dual_cndmask_b32 v3, v3, v96
	v_cmp_eq_u32_e32 vcc_lo, 6, v115
	v_dual_cndmask_b32 v2, v2, v89 :: v_dual_cndmask_b32 v3, v3, v95
	v_cmp_eq_u32_e32 vcc_lo, 7, v115
	s_delay_alu instid0(VALU_DEP_2) | instskip(NEXT) | instid1(VALU_DEP_3)
	v_cndmask_b32_e32 v2, v2, v88, vcc_lo
	v_cndmask_b32_e32 v3, v3, v92, vcc_lo
	v_cmp_eq_u32_e32 vcc_lo, 8, v115
	s_delay_alu instid0(VALU_DEP_2)
	v_dual_cndmask_b32 v114, v2, v87 :: v_dual_cndmask_b32 v113, v3, v52
	s_and_saveexec_b32 s5, s0
	s_cbranch_execz .LBB0_55
; %bb.52:
	s_delay_alu instid0(VALU_DEP_1)
	v_dual_mov_b32 v11, v113 :: v_dual_mov_b32 v116, -1
	v_mov_b32_e32 v7, v115
	v_dual_mov_b32 v83, -1 :: v_dual_mov_b32 v10, -1
	v_dual_mov_b32 v117, -1 :: v_dual_mov_b32 v12, v114
	s_mov_b32 s6, 0
.LBB0_53:                               ; =>This Inner Loop Header: Depth=1
	s_delay_alu instid0(VALU_DEP_1) | instskip(NEXT) | instid1(VALU_DEP_2)
	v_lshl_add_u32 v2, v7, 2, v228
	v_dual_mov_b32 v110, v12 :: v_dual_mov_b32 v109, v11
	scratch_load_b32 v20, v2, off
	v_cmp_gt_f64_e64 s3, 0, v[109:110]
	s_waitcnt vmcnt(0)
	v_cmp_gt_i32_e32 vcc_lo, 0, v20
	v_cndmask_b32_e32 v21, v20, v115, vcc_lo
	s_delay_alu instid0(VALU_DEP_1) | instskip(SKIP_1) | instid1(VALU_DEP_2)
	v_cmp_eq_u32_e64 s1, 1, v21
	v_cmp_eq_u32_e64 s2, 2, v21
	v_cndmask_b32_e64 v2, v221, v219, s1
	v_cndmask_b32_e64 v3, v220, v218, s1
	v_cmp_eq_u32_e64 s1, 3, v21
	s_delay_alu instid0(VALU_DEP_3) | instskip(NEXT) | instid1(VALU_DEP_3)
	v_cndmask_b32_e64 v2, v2, v253, s2
	v_cndmask_b32_e64 v3, v3, v252, s2
	s_delay_alu instid0(VALU_DEP_2) | instskip(NEXT) | instid1(VALU_DEP_2)
	v_cndmask_b32_e64 v2, v2, v175, s1
	v_cndmask_b32_e64 v3, v3, v174, s1
	v_cmp_eq_u32_e64 s1, 4, v21
	s_delay_alu instid0(VALU_DEP_1) | instskip(NEXT) | instid1(VALU_DEP_3)
	v_cndmask_b32_e64 v2, v2, v185, s1
	v_cndmask_b32_e64 v3, v3, v184, s1
	v_cmp_eq_u32_e64 s1, 5, v21
	s_delay_alu instid0(VALU_DEP_1) | instskip(NEXT) | instid1(VALU_DEP_3)
	;; [unrolled: 4-line block ×5, first 2 shown]
	v_cndmask_b32_e64 v17, v2, v87, s1
	v_cndmask_b32_e64 v16, v3, v52, s1
	v_cmp_le_f64_e64 s1, 0, v[109:110]
	s_delay_alu instid0(VALU_DEP_2) | instskip(SKIP_2) | instid1(VALU_DEP_3)
	v_cmp_gt_f64_e64 s2, 0, v[16:17]
	v_cmp_le_f64_e64 s4, 0, v[16:17]
	v_dual_mov_b32 v11, v16 :: v_dual_mov_b32 v12, v17
	s_and_b32 s1, s1, s2
	s_delay_alu instid0(VALU_DEP_2)
	s_and_b32 s2, s3, s4
	v_cndmask_b32_e64 v10, v10, v21, s1
	v_cndmask_b32_e64 v117, v117, v21, s2
	;; [unrolled: 1-line block ×4, first 2 shown]
	v_mov_b32_e32 v7, v20
	s_or_b32 s6, vcc_lo, s6
	s_delay_alu instid0(SALU_CYCLE_1)
	s_and_not1_b32 exec_lo, exec_lo, s6
	s_cbranch_execnz .LBB0_53
; %bb.54:
	s_or_b32 exec_lo, exec_lo, s6
.LBB0_55:
	s_delay_alu instid0(SALU_CYCLE_1) | instskip(SKIP_3) | instid1(VALU_DEP_3)
	s_or_b32 exec_lo, exec_lo, s5
	v_cmp_lt_i32_e64 s1, -1, v116
	v_dual_mov_b32 v2, -1 :: v_dual_mov_b32 v7, -1
	v_mov_b32_e32 v12, -1
	s_and_saveexec_b32 s23, s1
	s_cbranch_execz .LBB0_57
; %bb.56:
	s_clause 0x7
	scratch_load_b128 v[16:19], off, off offset:2928
	scratch_load_b128 v[20:23], off, off offset:2944
	;; [unrolled: 1-line block ×8, first 2 shown]
	v_cmp_eq_u32_e64 s2, 1, v10
	v_cmp_eq_u32_e64 s3, 2, v10
	;; [unrolled: 1-line block ×5, first 2 shown]
	v_cndmask_b32_e64 v7, v221, v219, s2
	v_cmp_eq_u32_e64 s7, 6, v10
	v_cmp_eq_u32_e64 s8, 7, v10
	;; [unrolled: 1-line block ×3, first 2 shown]
	v_cndmask_b32_e64 v10, v220, v218, s2
	v_cndmask_b32_e64 v7, v7, v253, s3
	v_cmp_eq_u32_e64 s10, 1, v116
	v_cmp_eq_u32_e64 s11, 2, v116
	;; [unrolled: 1-line block ×3, first 2 shown]
	v_cndmask_b32_e64 v10, v10, v252, s3
	v_cndmask_b32_e64 v7, v7, v175, s4
	v_cmp_eq_u32_e64 s13, 4, v116
	v_dual_mov_b32 v81, v90 :: v_dual_mov_b32 v80, v89
	s_delay_alu instid0(VALU_DEP_4) | instskip(NEXT) | instid1(VALU_DEP_4)
	v_cndmask_b32_e64 v10, v10, v174, s4
	v_cndmask_b32_e64 v7, v7, v185, s5
	v_cmp_eq_u32_e64 s14, 5, v116
	v_cmp_eq_u32_e64 s15, 6, v116
	;; [unrolled: 1-line block ×3, first 2 shown]
	v_cndmask_b32_e64 v10, v10, v184, s5
	v_cndmask_b32_e64 v7, v7, v90, s6
	v_cmp_eq_u32_e64 s19, 8, v116
	s_delay_alu instid0(VALU_DEP_3) | instskip(NEXT) | instid1(VALU_DEP_3)
	v_cndmask_b32_e64 v10, v10, v96, s6
	v_cndmask_b32_e64 v7, v7, v89, s7
	s_delay_alu instid0(VALU_DEP_2) | instskip(NEXT) | instid1(VALU_DEP_2)
	v_cndmask_b32_e64 v10, v10, v95, s7
	v_cndmask_b32_e64 v7, v7, v88, s8
	s_delay_alu instid0(VALU_DEP_2) | instskip(NEXT) | instid1(VALU_DEP_2)
	v_cndmask_b32_e64 v10, v10, v92, s8
	v_cndmask_b32_e64 v73, v7, v87, s9
	;; [unrolled: 1-line block ×3, first 2 shown]
	s_delay_alu instid0(VALU_DEP_1) | instskip(NEXT) | instid1(VALU_DEP_1)
	v_cndmask_b32_e64 v7, v7, v253, s11
	v_cndmask_b32_e64 v7, v7, v175, s12
	s_delay_alu instid0(VALU_DEP_1) | instskip(NEXT) | instid1(VALU_DEP_1)
	v_cndmask_b32_e64 v7, v7, v185, s13
	v_cndmask_b32_e64 v7, v7, v81, s14
	;; [unrolled: 3-line block ×3, first 2 shown]
	s_delay_alu instid0(VALU_DEP_1) | instskip(SKIP_1) | instid1(VALU_DEP_1)
	v_cndmask_b32_e64 v75, v7, v87, s19
	v_cndmask_b32_e64 v7, v242, v246, s10
	;; [unrolled: 1-line block ×3, first 2 shown]
	s_delay_alu instid0(VALU_DEP_1) | instskip(NEXT) | instid1(VALU_DEP_1)
	v_cndmask_b32_e64 v7, v7, v193, s12
	v_cndmask_b32_e64 v7, v7, v126, s13
	s_waitcnt vmcnt(3)
	v_mov_b32_e32 v82, v32
	s_delay_alu instid0(VALU_DEP_1) | instskip(SKIP_1) | instid1(VALU_DEP_2)
	v_cndmask_b32_e64 v72, v10, v82, s9
	v_cndmask_b32_e64 v10, v220, v218, s10
	v_add_f64 v[16:17], -v[72:73], 0
	s_delay_alu instid0(VALU_DEP_2) | instskip(NEXT) | instid1(VALU_DEP_1)
	v_cndmask_b32_e64 v10, v10, v252, s11
	v_cndmask_b32_e64 v10, v10, v174, s12
	s_delay_alu instid0(VALU_DEP_1) | instskip(NEXT) | instid1(VALU_DEP_1)
	v_cndmask_b32_e64 v10, v10, v184, s13
	v_cndmask_b32_e64 v10, v10, v96, s14
	s_delay_alu instid0(VALU_DEP_1) | instskip(NEXT) | instid1(VALU_DEP_1)
	v_cndmask_b32_e64 v10, v10, v95, s15
	v_cndmask_b32_e64 v10, v10, v92, s16
	s_delay_alu instid0(VALU_DEP_1) | instskip(SKIP_1) | instid1(VALU_DEP_2)
	v_cndmask_b32_e64 v74, v10, v82, s19
	v_cndmask_b32_e64 v10, v241, v245, s10
	v_add_f64 v[20:21], v[74:75], -v[72:73]
	s_delay_alu instid0(VALU_DEP_2) | instskip(NEXT) | instid1(VALU_DEP_1)
	v_cndmask_b32_e64 v10, v10, v249, s11
	v_cndmask_b32_e64 v10, v10, v192, s12
	s_delay_alu instid0(VALU_DEP_1) | instskip(NEXT) | instid1(VALU_DEP_4)
	v_cndmask_b32_e64 v10, v10, v125, s13
	v_div_scale_f64 v[22:23], null, v[20:21], v[20:21], v[16:17]
	s_delay_alu instid0(VALU_DEP_1) | instskip(SKIP_2) | instid1(VALU_DEP_1)
	v_rcp_f64_e32 v[24:25], v[22:23]
	s_waitcnt_depctr 0xfff
	v_fma_f64 v[26:27], -v[22:23], v[24:25], 1.0
	v_fma_f64 v[24:25], v[24:25], v[26:27], v[24:25]
	s_delay_alu instid0(VALU_DEP_1) | instskip(NEXT) | instid1(VALU_DEP_1)
	v_fma_f64 v[26:27], -v[22:23], v[24:25], 1.0
	v_fma_f64 v[24:25], v[24:25], v[26:27], v[24:25]
	v_div_scale_f64 v[26:27], vcc_lo, v[16:17], v[20:21], v[16:17]
	s_delay_alu instid0(VALU_DEP_1) | instskip(NEXT) | instid1(VALU_DEP_1)
	v_mul_f64 v[28:29], v[26:27], v[24:25]
	v_fma_f64 v[22:23], -v[22:23], v[28:29], v[26:27]
	s_delay_alu instid0(VALU_DEP_1) | instskip(NEXT) | instid1(VALU_DEP_1)
	v_div_fmas_f64 v[22:23], v[22:23], v[24:25], v[28:29]
	v_div_fixup_f64 v[76:77], v[22:23], v[20:21], v[16:17]
	s_clause 0x7
	scratch_load_b128 v[16:19], off, off offset:2160
	scratch_load_b128 v[20:23], off, off offset:2176
	;; [unrolled: 1-line block ×8, first 2 shown]
	v_add_f64 v[78:79], -v[76:77], 1.0
	s_waitcnt vmcnt(5)
	v_mov_b32_e32 v66, v27
	s_clause 0x7
	scratch_load_b128 v[11:14], off, off offset:2672
	scratch_load_b128 v[15:18], off, off offset:2688
	scratch_load_b128 v[19:22], off, off offset:2704
	scratch_load_b128 v[23:26], off, off offset:2720
	scratch_load_b128 v[27:30], off, off offset:2736
	scratch_load_b128 v[31:34], off, off offset:2752
	scratch_load_b128 v[35:38], off, off offset:2768
	scratch_load_b128 v[39:42], off, off offset:2784
	s_waitcnt vmcnt(5)
	v_mov_b32_e32 v68, v21
	s_clause 0x7
	scratch_load_b128 v[16:19], off, off offset:2032
	scratch_load_b128 v[20:23], off, off offset:2048
	scratch_load_b128 v[24:27], off, off offset:2064
	scratch_load_b128 v[28:31], off, off offset:2080
	scratch_load_b128 v[32:35], off, off offset:2096
	scratch_load_b128 v[36:39], off, off offset:2112
	scratch_load_b128 v[40:43], off, off offset:2128
	scratch_load_b128 v[44:47], off, off offset:2144
	;; [unrolled: 11-line block ×3, first 2 shown]
	scratch_load_b128 v[33:36], off, off offset:1904
	scratch_load_b128 v[37:40], off, off offset:1920
	scratch_load_b128 v[41:44], off, off offset:1936
	scratch_load_b128 v[45:48], off, off offset:1952
	scratch_load_b128 v[49:52], off, off offset:1968
	scratch_load_b128 v[53:56], off, off offset:1984
	scratch_load_b128 v[57:60], off, off offset:2000
	scratch_load_b128 v[61:64], off, off offset:2016
	s_waitcnt vmcnt(12)
	v_mov_b32_e32 v67, v23
	s_clause 0x7
	scratch_load_b128 v[11:14], off, off offset:2416
	scratch_load_b128 v[15:18], off, off offset:2432
	;; [unrolled: 1-line block ×8, first 2 shown]
	v_cndmask_b32_e64 v10, v10, v68, s14
	s_delay_alu instid0(VALU_DEP_1)
	v_cndmask_b32_e64 v10, v10, v67, s15
	s_waitcnt vmcnt(4)
	v_mov_b32_e32 v49, v25
	s_clause 0x7
	scratch_load_b128 v[16:19], off, off offset:112
	scratch_load_b128 v[20:23], off, off offset:128
	scratch_load_b128 v[24:27], off, off offset:144
	scratch_load_b128 v[28:31], off, off offset:160
	scratch_load_b128 v[32:35], off, off offset:176
	scratch_load_b128 v[36:39], off, off offset:192
	scratch_load_b128 v[40:43], off, off offset:208
	scratch_load_b128 v[44:47], off, off offset:224
	v_cndmask_b32_e64 v7, v7, v66, s14
	v_cndmask_b32_e64 v0, v10, v49, s16
	s_delay_alu instid0(VALU_DEP_2) | instskip(NEXT) | instid1(VALU_DEP_1)
	v_cndmask_b32_e64 v7, v7, v65, s15
	v_cndmask_b32_e64 v7, v7, v48, s16
	s_waitcnt vmcnt(3)
	v_mov_b32_e32 v35, v33
	s_delay_alu instid0(VALU_DEP_1)
	v_cndmask_b32_e64 v1, v7, v35, s19
	s_clause 0x7
	scratch_load_b128 v[3:6], off, off offset:2288
	scratch_load_b128 v[7:10], off, off offset:2304
	;; [unrolled: 1-line block ×8, first 2 shown]
	s_waitcnt vmcnt(6)
	v_cndmask_b32_e64 v7, v242, v246, s2
	v_cndmask_b32_e64 v10, v241, v245, s2
	s_waitcnt vmcnt(5)
	v_cndmask_b32_e64 v12, v244, v240, s2
	s_waitcnt vmcnt(1)
	;; [unrolled: 2-line block ×3, first 2 shown]
	v_cndmask_b32_e64 v31, v243, v239, s10
	v_cndmask_b32_e64 v7, v7, v250, s3
	;; [unrolled: 1-line block ×8, first 2 shown]
	s_delay_alu instid0(VALU_DEP_2) | instskip(NEXT) | instid1(VALU_DEP_2)
	v_cndmask_b32_e64 v7, v7, v126, s5
	v_cndmask_b32_e64 v10, v10, v125, s5
	s_delay_alu instid0(VALU_DEP_2) | instskip(NEXT) | instid1(VALU_DEP_2)
	v_cndmask_b32_e64 v7, v7, v66, s6
	v_cndmask_b32_e64 v10, v10, v68, s6
	;; [unrolled: 3-line block ×4, first 2 shown]
	s_delay_alu instid0(VALU_DEP_2) | instskip(SKIP_3) | instid1(VALU_DEP_2)
	v_cndmask_b32_e64 v21, v7, v35, s9
	scratch_load_b32 v7, off, off offset:100
	v_cndmask_b32_e64 v20, v10, v19, s9
	v_cndmask_b32_e64 v0, v0, v19, s19
	v_mul_f64 v[20:21], v[20:21], v[78:79]
	s_waitcnt vmcnt(0)
	v_cmp_eq_u32_e64 s20, 7, v7
	v_cmp_eq_u32_e64 s21, 6, v7
	;; [unrolled: 1-line block ×4, first 2 shown]
	v_cmp_eq_u32_e32 vcc_lo, 8, v7
	v_cmp_eq_u32_e64 s18, 4, v7
	v_fma_f64 v[89:90], v[0:1], v[76:77], v[20:21]
	s_delay_alu instid0(VALU_DEP_1)
	v_cndmask_b32_e32 v10, v19, v89, vcc_lo
	v_cndmask_b32_e64 v16, v49, v89, s20
	v_cndmask_b32_e64 v17, v67, v89, s21
	;; [unrolled: 1-line block ×8, first 2 shown]
	s_clause 0xf
	scratch_load_b128 v[38:41], off, off offset:880
	scratch_load_b128 v[42:45], off, off offset:896
	;; [unrolled: 1-line block ×16, first 2 shown]
	v_cndmask_b32_e32 v24, v35, v90, vcc_lo
	s_waitcnt vmcnt(12)
	v_cndmask_b32_e64 v51, v222, v226, s2
	v_cndmask_b32_e64 v25, v125, v89, s18
	v_cndmask_b32_e64 v27, v126, v90, s18
	s_delay_alu instid0(VALU_DEP_3) | instskip(NEXT) | instid1(VALU_DEP_1)
	v_cndmask_b32_e64 v51, v51, v224, s3
	v_cndmask_b32_e64 v51, v51, v97, s4
	s_delay_alu instid0(VALU_DEP_1) | instskip(NEXT) | instid1(VALU_DEP_1)
	v_cndmask_b32_e64 v51, v51, v107, s5
	v_cndmask_b32_e64 v51, v51, v146, s6
	;; [unrolled: 1-line block ×3, first 2 shown]
	s_waitcnt vmcnt(5)
	v_mov_b32_e32 v37, v197
	s_clause 0x7
	scratch_load_b128 v[186:189], off, off offset:1776
	scratch_load_b128 v[190:193], off, off offset:1792
	;; [unrolled: 1-line block ×8, first 2 shown]
	v_cndmask_b32_e64 v29, v29, v44, s4
	v_cndmask_b32_e64 v31, v31, v44, s12
	;; [unrolled: 1-line block ×3, first 2 shown]
	s_delay_alu instid0(VALU_DEP_3) | instskip(NEXT) | instid1(VALU_DEP_3)
	v_cndmask_b32_e64 v29, v29, v111, s5
	v_cndmask_b32_e64 v31, v31, v111, s13
	s_delay_alu instid0(VALU_DEP_3)
	v_cndmask_b32_e64 v12, v12, v37, s6
	s_waitcnt vmcnt(5)
	v_mov_b32_e32 v38, v196
	s_clause 0x7
	scratch_load_b128 v[186:189], off, off offset:1136
	scratch_load_b128 v[190:193], off, off offset:1152
	scratch_load_b128 v[194:197], off, off offset:1168
	scratch_load_b128 v[198:201], off, off offset:1184
	scratch_load_b128 v[202:205], off, off offset:1200
	scratch_load_b128 v[206:209], off, off offset:1216
	scratch_load_b128 v[210:213], off, off offset:1232
	scratch_load_b128 v[214:217], off, off offset:1248
	s_waitcnt vmcnt(4)
	v_mov_b32_e32 v33, v199
	s_clause 0x7
	scratch_load_b128 v[186:189], off, off offset:1648
	scratch_load_b128 v[190:193], off, off offset:1664
	scratch_load_b128 v[194:197], off, off offset:1680
	scratch_load_b128 v[198:201], off, off offset:1696
	scratch_load_b128 v[202:205], off, off offset:1712
	scratch_load_b128 v[206:209], off, off offset:1728
	scratch_load_b128 v[210:213], off, off offset:1744
	scratch_load_b128 v[214:217], off, off offset:1760
	v_cndmask_b32_e64 v29, v29, v38, s6
	v_cndmask_b32_e64 v31, v31, v38, s14
	v_cndmask_b32_e64 v12, v12, v33, s7
	s_waitcnt vmcnt(4)
	v_mov_b32_e32 v36, v198
	s_clause 0x7
	scratch_load_b128 v[186:189], off, off offset:1008
	scratch_load_b128 v[190:193], off, off offset:1024
	scratch_load_b128 v[194:197], off, off offset:1040
	scratch_load_b128 v[198:201], off, off offset:1056
	scratch_load_b128 v[202:205], off, off offset:1072
	scratch_load_b128 v[206:209], off, off offset:1088
	scratch_load_b128 v[210:213], off, off offset:1104
	scratch_load_b128 v[214:217], off, off offset:1120
	s_waitcnt vmcnt(4)
	v_mov_b32_e32 v19, v201
	s_clause 0x7
	scratch_load_b128 v[186:189], off, off offset:1520
	scratch_load_b128 v[190:193], off, off offset:1536
	scratch_load_b128 v[194:197], off, off offset:1552
	scratch_load_b128 v[198:201], off, off offset:1568
	scratch_load_b128 v[202:205], off, off offset:1584
	scratch_load_b128 v[206:209], off, off offset:1600
	scratch_load_b128 v[210:213], off, off offset:1616
	scratch_load_b128 v[214:217], off, off offset:1632
	v_cndmask_b32_e64 v29, v29, v36, s7
	v_cndmask_b32_e64 v31, v31, v36, s15
	;; [unrolled: 25-line block ×3, first 2 shown]
	v_cndmask_b32_e64 v30, v12, v18, s9
	v_cndmask_b32_e64 v12, v244, v240, s10
	s_delay_alu instid0(VALU_DEP_1) | instskip(NEXT) | instid1(VALU_DEP_1)
	v_cndmask_b32_e64 v12, v12, v238, s11
	v_cndmask_b32_e64 v12, v12, v45, s12
	s_delay_alu instid0(VALU_DEP_1) | instskip(NEXT) | instid1(VALU_DEP_1)
	;; [unrolled: 3-line block ×3, first 2 shown]
	v_cndmask_b32_e64 v12, v12, v33, s15
	v_cndmask_b32_e64 v12, v12, v19, s16
	s_delay_alu instid0(VALU_DEP_1) | instskip(SKIP_2) | instid1(VALU_DEP_2)
	v_cndmask_b32_e64 v32, v12, v18, s19
	v_cndmask_b32_e64 v12, v223, v227, s2
	v_cmp_eq_u32_e64 s2, 4, v117
	v_cndmask_b32_e64 v12, v12, v225, s3
	v_cmp_eq_u32_e64 s3, 6, v117
	s_delay_alu instid0(VALU_DEP_2) | instskip(SKIP_1) | instid1(VALU_DEP_2)
	v_cndmask_b32_e64 v12, v12, v98, s4
	v_cmp_eq_u32_e64 s4, 5, v117
	v_cndmask_b32_e64 v12, v12, v108, s5
	v_cmp_eq_u32_e64 s5, 3, v117
	s_delay_alu instid0(VALU_DEP_2) | instskip(SKIP_3) | instid1(VALU_DEP_1)
	v_cndmask_b32_e64 v12, v12, v135, s6
	v_cmp_eq_u32_e64 s6, 8, v117
	s_waitcnt vmcnt(3)
	v_mov_b32_e32 v34, v202
	v_cndmask_b32_e64 v29, v29, v34, s9
	v_cndmask_b32_e64 v31, v31, v34, s19
	s_delay_alu instid0(VALU_DEP_2) | instskip(NEXT) | instid1(VALU_DEP_1)
	v_mul_f64 v[29:30], v[29:30], v[78:79]
	v_fma_f64 v[70:71], v[31:32], v[76:77], v[29:30]
	s_delay_alu instid0(VALU_DEP_1) | instskip(SKIP_1) | instid1(VALU_DEP_3)
	v_cndmask_b32_e32 v32, v34, v70, vcc_lo
	v_cndmask_b32_e64 v29, v38, v70, s22
	v_cndmask_b32_e64 v34, v33, v71, s21
	;; [unrolled: 1-line block ×3, first 2 shown]
	v_mul_f64 v[37:38], v[72:73], v[78:79]
	v_cndmask_b32_e64 v31, v35, v70, s20
	v_cndmask_b32_e64 v30, v36, v70, s21
	;; [unrolled: 1-line block ×5, first 2 shown]
	v_cndmask_b32_e32 v36, v18, v71, vcc_lo
	v_cndmask_b32_e64 v49, v112, v71, s18
	v_cndmask_b32_e64 v47, v111, v70, s18
	v_fma_f64 v[72:73], v[74:75], v[76:77], v[37:38]
	s_delay_alu instid0(VALU_DEP_1) | instskip(NEXT) | instid1(VALU_DEP_2)
	v_cndmask_b32_e64 v8, v174, v72, s17
	v_cndmask_b32_e64 v9, v175, v73, s17
	s_clause 0x7
	scratch_load_b128 v[147:150], off, off offset:496
	scratch_load_b128 v[151:154], off, off offset:512
	;; [unrolled: 1-line block ×8, first 2 shown]
	v_cndmask_b32_e64 v39, v92, v72, s20
	v_cndmask_b32_e64 v38, v95, v72, s21
	;; [unrolled: 1-line block ×6, first 2 shown]
	v_cndmask_b32_e32 v40, v82, v72, vcc_lo
	v_cndmask_b32_e64 v18, v184, v72, s18
	v_cndmask_b32_e64 v19, v185, v73, s18
	s_waitcnt vmcnt(4)
	v_mov_b32_e32 v52, v160
	s_clause 0x7
	scratch_load_b128 v[147:150], off, off offset:752
	scratch_load_b128 v[151:154], off, off offset:768
	;; [unrolled: 1-line block ×8, first 2 shown]
	v_cndmask_b32_e64 v12, v12, v52, s7
	s_waitcnt vmcnt(4)
	v_mov_b32_e32 v60, v159
	s_clause 0x7
	scratch_load_b128 v[147:150], off, off offset:368
	scratch_load_b128 v[151:154], off, off offset:384
	;; [unrolled: 1-line block ×8, first 2 shown]
	v_cndmask_b32_e32 v46, v87, v73, vcc_lo
	v_cndmask_b32_e64 v51, v51, v60, s7
	v_cmp_eq_u32_e64 s7, 7, v117
	s_waitcnt vmcnt(4)
	v_mov_b32_e32 v43, v162
	s_clause 0x7
	scratch_load_b128 v[147:150], off, off offset:624
	scratch_load_b128 v[151:154], off, off offset:640
	;; [unrolled: 1-line block ×8, first 2 shown]
	v_cndmask_b32_e64 v12, v12, v43, s8
	s_waitcnt vmcnt(4)
	v_mov_b32_e32 v54, v161
	s_clause 0x7
	scratch_load_b128 v[147:150], off, off offset:240
	scratch_load_b128 v[151:154], off, off offset:256
	;; [unrolled: 1-line block ×8, first 2 shown]
	v_cndmask_b32_e64 v51, v51, v54, s8
	v_cmp_eq_u32_e64 s8, 3, v83
	s_waitcnt vmcnt(3)
	v_mov_b32_e32 v42, v164
	s_clause 0x7
	scratch_load_b128 v[147:150], off, off offset:3056
	scratch_load_b128 v[151:154], off, off offset:3072
	scratch_load_b128 v[155:158], off, off offset:3088
	scratch_load_b128 v[159:162], off, off offset:3104
	scratch_load_b128 v[163:166], off, off offset:3120
	scratch_load_b128 v[167:170], off, off offset:3136
	scratch_load_b128 v[171:174], off, off offset:3152
	scratch_load_b128 v[175:178], off, off offset:3168
	v_cndmask_b32_e64 v59, v12, v42, s9
	v_cndmask_b32_e64 v12, v223, v227, s10
	s_delay_alu instid0(VALU_DEP_1) | instskip(NEXT) | instid1(VALU_DEP_1)
	v_cndmask_b32_e64 v12, v12, v225, s11
	v_cndmask_b32_e64 v12, v12, v98, s12
	s_delay_alu instid0(VALU_DEP_1) | instskip(NEXT) | instid1(VALU_DEP_1)
	;; [unrolled: 3-line block ×3, first 2 shown]
	v_cndmask_b32_e64 v12, v12, v52, s15
	v_cndmask_b32_e64 v12, v12, v43, s16
	s_waitcnt vmcnt(3)
	v_mov_b32_e32 v53, v163
	s_delay_alu instid0(VALU_DEP_1) | instskip(SKIP_3) | instid1(VALU_DEP_4)
	v_cndmask_b32_e64 v58, v51, v53, s9
	v_cndmask_b32_e64 v51, v222, v226, s10
	v_cmp_eq_u32_e64 s9, 5, v83
	v_cmp_eq_u32_e64 s10, 8, v83
	v_mul_f64 v[56:57], v[58:59], v[78:79]
	s_delay_alu instid0(VALU_DEP_4) | instskip(SKIP_3) | instid1(VALU_DEP_4)
	v_cndmask_b32_e64 v51, v51, v224, s11
	v_cndmask_b32_e64 v59, v12, v42, s19
	v_lshlrev_b32_e32 v12, 2, v7
	v_cmp_eq_u32_e64 s11, 2, v117
	v_cndmask_b32_e64 v51, v51, v97, s12
	v_cmp_eq_u32_e64 s12, 4, v83
	s_delay_alu instid0(VALU_DEP_4) | instskip(NEXT) | instid1(VALU_DEP_3)
	v_add3_u32 v12, 16, v12, 40
	v_cndmask_b32_e64 v51, v51, v107, s13
	v_cmp_eq_u32_e64 s13, 7, v83
	scratch_load_b32 v12, v12, off
	v_cndmask_b32_e64 v51, v51, v146, s14
	v_cmp_eq_u32_e64 s14, 6, v83
	s_delay_alu instid0(VALU_DEP_2) | instskip(SKIP_1) | instid1(VALU_DEP_2)
	v_cndmask_b32_e64 v51, v51, v60, s15
	v_cmp_eq_u32_e64 s15, 1, v83
	v_cndmask_b32_e64 v51, v51, v54, s16
	v_cmp_eq_u32_e64 s16, 2, v83
	s_delay_alu instid0(VALU_DEP_2) | instskip(SKIP_1) | instid1(VALU_DEP_2)
	v_cndmask_b32_e64 v58, v51, v53, s19
	v_cmp_eq_u32_e64 s19, 1, v117
	v_fma_f64 v[74:75], v[58:59], v[76:77], v[56:57]
	s_delay_alu instid0(VALU_DEP_1) | instskip(SKIP_1) | instid1(VALU_DEP_3)
	v_cndmask_b32_e64 v55, v54, v74, s20
	v_cndmask_b32_e64 v54, v60, v74, s21
	;; [unrolled: 1-line block ×4, first 2 shown]
	v_cmp_eq_u32_e64 s20, 1, v7
	v_cmp_eq_u32_e64 s21, 0, v7
	v_cndmask_b32_e64 v51, v146, v74, s22
	v_cndmask_b32_e64 v57, v135, v75, s22
	v_cmp_eq_u32_e64 s22, 2, v7
	v_cndmask_b32_e64 v0, v218, v72, s20
	v_cndmask_b32_e64 v1, v219, v73, s20
	;; [unrolled: 1-line block ×6, first 2 shown]
	v_cndmask_b32_e32 v60, v42, v75, vcc_lo
	v_cndmask_b32_e64 v68, v62, v1, s15
	v_cndmask_b32_e64 v72, v61, v0, s15
	;; [unrolled: 1-line block ×4, first 2 shown]
	v_cndmask_b32_e32 v56, v53, v74, vcc_lo
	v_cndmask_b32_e64 v68, v68, v65, s16
	v_cndmask_b32_e64 v72, v72, v63, s16
	;; [unrolled: 1-line block ×36, first 2 shown]
	v_add_f64 v[78:79], -v[72:73], 0
	v_cndmask_b32_e64 v53, v64, v66, s19
	v_add_f64 v[80:81], v[76:77], -v[72:73]
	v_cndmask_b32_e64 v68, v68, v67, s16
	v_cndmask_b32_e64 v105, v227, v75, s20
	;; [unrolled: 1-line block ×13, first 2 shown]
	s_delay_alu instid0(VALU_DEP_4) | instskip(NEXT) | instid1(VALU_DEP_4)
	v_cndmask_b32_e64 v99, v99, v92, s11
	v_cndmask_b32_e64 v68, v68, v20, s9
	s_delay_alu instid0(VALU_DEP_2) | instskip(NEXT) | instid1(VALU_DEP_2)
	v_cndmask_b32_e64 v99, v99, v91, s5
	v_cndmask_b32_e64 v68, v68, v17, s14
	s_delay_alu instid0(VALU_DEP_1) | instskip(SKIP_2) | instid1(VALU_DEP_2)
	v_cndmask_b32_e64 v68, v68, v16, s13
	v_div_scale_f64 v[82:83], null, v[80:81], v[80:81], v[78:79]
	v_div_scale_f64 v[88:89], vcc_lo, v[78:79], v[80:81], v[78:79]
	v_rcp_f64_e32 v[84:85], v[82:83]
	s_waitcnt_depctr 0xfff
	v_fma_f64 v[86:87], -v[82:83], v[84:85], 1.0
	s_delay_alu instid0(VALU_DEP_1) | instskip(NEXT) | instid1(VALU_DEP_1)
	v_fma_f64 v[84:85], v[84:85], v[86:87], v[84:85]
	v_fma_f64 v[86:87], -v[82:83], v[84:85], 1.0
	s_waitcnt vmcnt(0)
	v_lshlrev_b32_e32 v6, 2, v12
	s_delay_alu instid0(VALU_DEP_1) | instskip(SKIP_2) | instid1(VALU_DEP_1)
	v_add3_u32 v6, 16, v6, 40
	scratch_load_b32 v6, v6, off
	v_fma_f64 v[84:85], v[84:85], v[86:87], v[84:85]
	v_mul_f64 v[86:87], v[88:89], v[84:85]
	s_delay_alu instid0(VALU_DEP_1) | instskip(SKIP_2) | instid1(VALU_DEP_3)
	v_fma_f64 v[82:83], -v[82:83], v[86:87], v[88:89]
	v_cndmask_b32_e64 v89, v240, v71, s20
	v_cndmask_b32_e64 v88, v238, v71, s22
	v_div_fmas_f64 v[82:83], v[82:83], v[84:85], v[86:87]
	v_cndmask_b32_e64 v84, v242, v90, s21
	v_cndmask_b32_e64 v86, v239, v70, s20
	;; [unrolled: 1-line block ×4, first 2 shown]
	v_cmp_eq_u32_e32 vcc_lo, 3, v12
	s_delay_alu instid0(VALU_DEP_3) | instskip(NEXT) | instid1(VALU_DEP_1)
	v_cndmask_b32_e64 v70, v87, v86, s19
	v_cndmask_b32_e64 v70, v70, v85, s11
	s_delay_alu instid0(VALU_DEP_1)
	v_cndmask_b32_e64 v70, v70, v48, s5
	v_div_fixup_f64 v[78:79], v[82:83], v[80:81], v[78:79]
	v_cndmask_b32_e64 v83, v246, v90, s20
	v_cndmask_b32_e64 v82, v250, v90, s22
	;; [unrolled: 1-line block ×24, first 2 shown]
	s_delay_alu instid0(VALU_DEP_4) | instskip(NEXT) | instid1(VALU_DEP_4)
	v_cndmask_b32_e64 v102, v102, v21, s9
	v_cndmask_b32_e64 v75, v75, v96, s11
	s_delay_alu instid0(VALU_DEP_4) | instskip(SKIP_1) | instid1(VALU_DEP_4)
	v_cndmask_b32_e64 v52, v71, v33, s9
	v_cndmask_b32_e64 v71, v74, v29, s9
	;; [unrolled: 1-line block ×3, first 2 shown]
	s_delay_alu instid0(VALU_DEP_4) | instskip(NEXT) | instid1(VALU_DEP_4)
	v_cndmask_b32_e64 v75, v75, v95, s5
	v_cndmask_b32_e64 v104, v52, v34, s14
	;; [unrolled: 1-line block ×6, first 2 shown]
	v_add_f64 v[42:43], -v[78:79], 1.0
	v_cndmask_b32_e64 v68, v100, v95, s8
	v_cndmask_b32_e64 v100, v104, v35, s13
	;; [unrolled: 1-line block ×26, first 2 shown]
	v_cmp_eq_u32_e64 s2, 4, v12
	v_cndmask_b32_e64 v102, v102, v16, s7
	v_cmp_eq_u32_e64 s5, 0, v12
	v_cndmask_b32_e64 v101, v101, v34, s3
	v_mul_f64 v[52:53], v[52:53], v[42:43]
	v_mul_f64 v[70:71], v[72:73], v[42:43]
	v_cndmask_b32_e64 v73, v100, v60, s10
	v_cndmask_b32_e64 v72, v74, v56, s10
	v_cndmask_b32_e64 v100, v104, v23, s7
	v_mul_f64 v[68:69], v[68:69], v[42:43]
	v_cndmask_b32_e64 v74, v103, v29, s4
	s_delay_alu instid0(VALU_DEP_4) | instskip(NEXT) | instid1(VALU_DEP_4)
	v_mul_f64 v[42:43], v[72:73], v[42:43]
	v_cndmask_b32_e64 v73, v100, v24, s6
	v_cndmask_b32_e64 v72, v102, v10, s6
	s_delay_alu instid0(VALU_DEP_4) | instskip(SKIP_1) | instid1(VALU_DEP_2)
	v_cndmask_b32_e64 v74, v74, v30, s3
	v_cndmask_b32_e64 v100, v101, v35, s7
	;; [unrolled: 1-line block ×3, first 2 shown]
	s_delay_alu instid0(VALU_DEP_4) | instskip(NEXT) | instid1(VALU_DEP_3)
	v_fma_f64 v[72:73], v[72:73], v[78:79], v[52:53]
	v_cndmask_b32_e64 v53, v100, v36, s6
	v_fma_f64 v[70:71], v[76:77], v[78:79], v[70:71]
	s_waitcnt vmcnt(0)
	scratch_store_b32 off, v6, off offset:100
	v_cndmask_b32_e32 v193, v28, v73, vcc_lo
	v_cndmask_b32_e64 v52, v74, v32, s6
	v_cndmask_b32_e64 v74, v75, v57, s4
	;; [unrolled: 1-line block ×4, first 2 shown]
	v_cndmask_b32_e32 v192, v26, v72, vcc_lo
	v_fma_f64 v[68:69], v[52:53], v[78:79], v[68:69]
	v_cndmask_b32_e64 v52, v74, v58, s3
	v_cndmask_b32_e64 v53, v75, v54, s3
	v_cndmask_b32_e64 v126, v27, v73, s2
	v_dual_cndmask_b32 v175, v9, v71 :: v_dual_cndmask_b32 v174, v8, v70
	s_delay_alu instid0(VALU_DEP_4) | instskip(NEXT) | instid1(VALU_DEP_4)
	v_cndmask_b32_e64 v52, v52, v59, s7
	v_cndmask_b32_e64 v74, v53, v55, s7
	v_cmp_eq_u32_e64 s3, 2, v12
	v_cmp_eq_u32_e64 s4, 1, v12
	v_cndmask_b32_e64 v184, v18, v70, s2
	v_cndmask_b32_e64 v53, v52, v60, s6
	;; [unrolled: 1-line block ×7, first 2 shown]
	v_fma_f64 v[74:75], v[52:53], v[78:79], v[42:43]
	v_cndmask_b32_e64 v253, v65, v71, s3
	v_cndmask_b32_e64 v252, v63, v70, s3
	;; [unrolled: 1-line block ×8, first 2 shown]
	v_dual_cndmask_b32 v26, v50, v69 :: v_dual_cndmask_b32 v25, v48, v68
	v_cndmask_b32_e64 v112, v49, v69, s2
	v_cndmask_b32_e64 v111, v47, v68, s2
	s_clause 0x7
	scratch_store_b128 off, v[19:22], off offset:880
	scratch_store_b128 off, v[23:26], off offset:896
	;; [unrolled: 1-line block ×8, first 2 shown]
	v_cndmask_b32_e64 v238, v88, v69, s3
	v_cndmask_b32_e64 v237, v85, v68, s3
	;; [unrolled: 1-line block ×6, first 2 shown]
	v_cndmask_b32_e32 v98, v95, v75, vcc_lo
	v_cndmask_b32_e32 v97, v91, v74, vcc_lo
	v_cmp_eq_u32_e32 vcc_lo, 8, v12
	v_cndmask_b32_e64 v108, v81, v75, s2
	v_cndmask_b32_e64 v107, v80, v74, s2
	;; [unrolled: 1-line block ×6, first 2 shown]
	v_cmp_eq_u32_e64 s3, 6, v12
	v_cmp_eq_u32_e64 s4, 5, v12
	v_cndmask_b32_e64 v223, v106, v75, s5
	v_cndmask_b32_e64 v222, v94, v74, s5
	s_delay_alu instid0(VALU_DEP_3)
	v_cndmask_b32_e64 v135, v57, v75, s4
	v_cndmask_b32_e64 v146, v51, v74, s4
	v_cndmask_b32_e32 v18, v24, v73, vcc_lo
	v_cndmask_b32_e64 v185, v19, v71, s2
	v_cmp_eq_u32_e64 s2, 7, v12
	s_clause 0x7
	scratch_store_b128 off, v[1:4], off offset:112
	scratch_store_b128 off, v[5:8], off offset:128
	scratch_store_b128 off, v[9:12], off offset:144
	scratch_store_b128 off, v[13:16], off offset:160
	scratch_store_b128 off, v[17:20], off offset:176
	scratch_store_b128 off, v[21:24], off offset:192
	scratch_store_b128 off, v[25:28], off offset:208
	scratch_store_b128 off, v[29:32], off offset:224
	v_cndmask_b32_e32 v87, v46, v71, vcc_lo
	v_cndmask_b32_e64 v88, v45, v71, s2
	v_cndmask_b32_e64 v92, v39, v70, s2
	;; [unrolled: 1-line block ×6, first 2 shown]
	v_cndmask_b32_e32 v18, v10, v72, vcc_lo
	s_clause 0x7
	scratch_store_b128 off, v[2:5], off offset:2288
	scratch_store_b128 off, v[6:9], off offset:2304
	scratch_store_b128 off, v[10:13], off offset:2320
	scratch_store_b128 off, v[14:17], off offset:2336
	scratch_store_b128 off, v[18:21], off offset:2352
	scratch_store_b128 off, v[22:25], off offset:2368
	scratch_store_b128 off, v[26:29], off offset:2384
	scratch_store_b128 off, v[30:33], off offset:2400
	v_cndmask_b32_e64 v18, v23, v73, s2
	s_clause 0x7
	scratch_store_b128 off, v[3:6], off offset:1904
	scratch_store_b128 off, v[7:10], off offset:1920
	scratch_store_b128 off, v[11:14], off offset:1936
	scratch_store_b128 off, v[15:18], off offset:1952
	scratch_store_b128 off, v[19:22], off offset:1968
	scratch_store_b128 off, v[23:26], off offset:1984
	scratch_store_b128 off, v[27:30], off offset:2000
	scratch_store_b128 off, v[31:34], off offset:2016
	v_cndmask_b32_e64 v14, v16, v72, s2
	;; [unrolled: 10-line block ×6, first 2 shown]
	s_clause 0x7
	scratch_store_b128 off, v[0:3], off offset:2672
	scratch_store_b128 off, v[4:7], off offset:2688
	;; [unrolled: 1-line block ×8, first 2 shown]
	v_cndmask_b32_e32 v17, v36, v69, vcc_lo
	s_clause 0x7
	scratch_store_b128 off, v[0:3], off offset:2800
	scratch_store_b128 off, v[4:7], off offset:2816
	;; [unrolled: 1-line block ×8, first 2 shown]
	v_cndmask_b32_e32 v16, v32, v68, vcc_lo
	s_clause 0x7
	scratch_store_b128 off, v[0:3], off offset:1392
	scratch_store_b128 off, v[4:7], off offset:1408
	scratch_store_b128 off, v[8:11], off offset:1424
	scratch_store_b128 off, v[12:15], off offset:1440
	scratch_store_b128 off, v[16:19], off offset:1456
	scratch_store_b128 off, v[20:23], off offset:1472
	scratch_store_b128 off, v[24:27], off offset:1488
	scratch_store_b128 off, v[28:31], off offset:1504
	v_cndmask_b32_e64 v16, v35, v69, s2
	s_clause 0x7
	scratch_store_b128 off, v[1:4], off offset:1008
	scratch_store_b128 off, v[5:8], off offset:1024
	scratch_store_b128 off, v[9:12], off offset:1040
	scratch_store_b128 off, v[13:16], off offset:1056
	scratch_store_b128 off, v[17:20], off offset:1072
	scratch_store_b128 off, v[21:24], off offset:1088
	scratch_store_b128 off, v[25:28], off offset:1104
	scratch_store_b128 off, v[29:32], off offset:1120
	v_cndmask_b32_e64 v16, v31, v68, s2
	;; [unrolled: 10-line block ×6, first 2 shown]
	s_clause 0x7
	scratch_store_b128 off, v[0:3], off offset:1776
	scratch_store_b128 off, v[4:7], off offset:1792
	scratch_store_b128 off, v[8:11], off offset:1808
	scratch_store_b128 off, v[12:15], off offset:1824
	scratch_store_b128 off, v[16:19], off offset:1840
	scratch_store_b128 off, v[20:23], off offset:1856
	scratch_store_b128 off, v[24:27], off offset:1872
	scratch_store_b128 off, v[28:31], off offset:1888
	v_cndmask_b32_e32 v16, v40, v70, vcc_lo
	s_clause 0x7
	scratch_store_b128 off, v[0:3], off offset:2928
	scratch_store_b128 off, v[4:7], off offset:2944
	scratch_store_b128 off, v[8:11], off offset:2960
	scratch_store_b128 off, v[12:15], off offset:2976
	scratch_store_b128 off, v[16:19], off offset:2992
	scratch_store_b128 off, v[20:23], off offset:3008
	scratch_store_b128 off, v[24:27], off offset:3024
	scratch_store_b128 off, v[28:31], off offset:3040
	v_cndmask_b32_e32 v17, v60, v75, vcc_lo
	;; [unrolled: 10-line block ×3, first 2 shown]
	s_clause 0x7
	scratch_store_b128 off, v[0:3], off offset:3056
	scratch_store_b128 off, v[4:7], off offset:3072
	scratch_store_b128 off, v[8:11], off offset:3088
	scratch_store_b128 off, v[12:15], off offset:3104
	scratch_store_b128 off, v[16:19], off offset:3120
	scratch_store_b128 off, v[20:23], off offset:3136
	scratch_store_b128 off, v[24:27], off offset:3152
	scratch_store_b128 off, v[28:31], off offset:3168
	v_cndmask_b32_e64 v16, v59, v75, s2
	s_clause 0x7
	scratch_store_b128 off, v[1:4], off offset:368
	scratch_store_b128 off, v[5:8], off offset:384
	scratch_store_b128 off, v[9:12], off offset:400
	scratch_store_b128 off, v[13:16], off offset:416
	scratch_store_b128 off, v[17:20], off offset:432
	scratch_store_b128 off, v[21:24], off offset:448
	scratch_store_b128 off, v[25:28], off offset:464
	scratch_store_b128 off, v[29:32], off offset:480
	v_cndmask_b32_e64 v16, v55, v74, s2
	;; [unrolled: 10-line block ×4, first 2 shown]
	s_clause 0x7
	scratch_store_b128 off, v[4:7], off offset:752
	scratch_store_b128 off, v[8:11], off offset:768
	;; [unrolled: 1-line block ×8, first 2 shown]
.LBB0_57:
	s_or_b32 exec_lo, exec_lo, s23
	s_mov_b32 s2, 0
	scratch_store_b32 off, v2, off offset:96
	s_mov_b32 s3, exec_lo
	s_clause 0xf
	scratch_load_b128 v[16:19], off, off offset:2928
	scratch_load_b128 v[20:23], off, off offset:2944
	;; [unrolled: 1-line block ×16, first 2 shown]
	s_and_b32 s0, s3, s0
	s_waitcnt vmcnt(11)
	v_mov_b32_e32 v16, v32
	s_mov_b32 exec_lo, s0
	s_cbranch_execz .LBB0_67
; %bb.58:
	v_cmp_gt_f64_e32 vcc_lo, 0, v[113:114]
	s_mov_b32 s4, 0
	s_branch .LBB0_60
.LBB0_59:                               ;   in Loop: Header=BB0_60 Depth=1
	s_or_b32 exec_lo, exec_lo, s0
	s_waitcnt vmcnt(0)
	v_cmp_gt_i32_e64 s0, 0, v4
	v_mov_b32_e32 v115, v4
	s_delay_alu instid0(VALU_DEP_2) | instskip(NEXT) | instid1(SALU_CYCLE_1)
	s_or_b32 s4, s0, s4
	s_and_not1_b32 exec_lo, exec_lo, s4
	s_cbranch_execz .LBB0_66
.LBB0_60:                               ; =>This Inner Loop Header: Depth=1
	s_delay_alu instid0(VALU_DEP_1) | instskip(SKIP_1) | instid1(VALU_DEP_2)
	v_cmp_eq_u32_e64 s0, 1, v115
	v_cmp_eq_u32_e64 s2, 2, v115
	v_cndmask_b32_e64 v4, v221, v219, s0
	v_cndmask_b32_e64 v5, v220, v218, s0
	v_cmp_eq_u32_e64 s0, 3, v115
	s_delay_alu instid0(VALU_DEP_3) | instskip(NEXT) | instid1(VALU_DEP_3)
	v_cndmask_b32_e64 v4, v4, v253, s2
	v_cndmask_b32_e64 v5, v5, v252, s2
	s_mov_b32 s2, 0
	s_delay_alu instid0(VALU_DEP_2) | instskip(NEXT) | instid1(VALU_DEP_2)
	v_cndmask_b32_e64 v4, v4, v175, s0
	v_cndmask_b32_e64 v5, v5, v174, s0
	v_cmp_eq_u32_e64 s0, 4, v115
	s_delay_alu instid0(VALU_DEP_1) | instskip(NEXT) | instid1(VALU_DEP_3)
	v_cndmask_b32_e64 v4, v4, v185, s0
	v_cndmask_b32_e64 v5, v5, v184, s0
	v_cmp_eq_u32_e64 s0, 5, v115
	s_delay_alu instid0(VALU_DEP_1) | instskip(NEXT) | instid1(VALU_DEP_3)
	;; [unrolled: 4-line block ×5, first 2 shown]
	v_cndmask_b32_e64 v5, v4, v87, s0
	v_cndmask_b32_e64 v4, v6, v16, s0
	v_lshl_add_u32 v6, v115, 2, v228
	s_delay_alu instid0(VALU_DEP_2) | instskip(SKIP_2) | instid1(SALU_CYCLE_1)
	v_cmp_ngt_f64_e64 s0, 0, v[4:5]
	scratch_load_b32 v4, v6, off
                                        ; implicit-def: $vgpr5
	s_and_saveexec_b32 s5, s0
	s_xor_b32 s5, exec_lo, s5
	s_cbranch_execnz .LBB0_63
; %bb.61:                               ;   in Loop: Header=BB0_60 Depth=1
	s_and_not1_saveexec_b32 s0, s5
	s_cbranch_execnz .LBB0_64
.LBB0_62:                               ;   in Loop: Header=BB0_60 Depth=1
	s_or_b32 exec_lo, exec_lo, s0
	s_and_saveexec_b32 s0, s2
	s_cbranch_execz .LBB0_59
	s_branch .LBB0_65
.LBB0_63:                               ;   in Loop: Header=BB0_60 Depth=1
	scratch_load_b32 v5, off, off offset:96
                                        ; implicit-def: $vgpr6
	s_waitcnt vmcnt(0)
	v_cmp_eq_u32_e64 s0, -1, v5
	v_mov_b32_e32 v5, 0x60
	s_delay_alu instid0(VALU_DEP_2)
	s_and_b32 s2, s0, exec_lo
	s_and_not1_saveexec_b32 s0, s5
	s_cbranch_execz .LBB0_62
.LBB0_64:                               ;   in Loop: Header=BB0_60 Depth=1
	scratch_load_b32 v10, off, off offset:100
	v_mov_b32_e32 v5, 0x64
	s_or_b32 s2, s2, exec_lo
	s_waitcnt vmcnt(0)
	scratch_store_b32 v6, v10, off
	s_or_b32 exec_lo, exec_lo, s0
	s_and_saveexec_b32 s0, s2
	s_cbranch_execz .LBB0_59
.LBB0_65:                               ;   in Loop: Header=BB0_60 Depth=1
	scratch_store_b32 v5, v115, off
	s_branch .LBB0_59
.LBB0_66:
	s_or_b32 exec_lo, exec_lo, s4
	s_delay_alu instid0(SALU_CYCLE_1)
	s_and_b32 s2, vcc_lo, exec_lo
.LBB0_67:
	s_or_b32 exec_lo, exec_lo, s3
	s_and_saveexec_b32 s0, s1
; %bb.68:
	v_cmp_gt_f64_e32 vcc_lo, 0, v[109:110]
	v_lshlrev_b32_e32 v2, 2, v116
	v_lshlrev_b32_e32 v3, 2, v7
	;; [unrolled: 1-line block ×3, first 2 shown]
	s_delay_alu instid0(VALU_DEP_3) | instskip(NEXT) | instid1(VALU_DEP_3)
	v_add3_u32 v2, 16, v2, 40
	v_add3_u32 v3, 16, v3, 40
	s_delay_alu instid0(VALU_DEP_3) | instskip(SKIP_1) | instid1(SALU_CYCLE_1)
	v_add3_u32 v4, 16, v4, 40
	s_or_b32 s1, vcc_lo, s2
	v_cndmask_b32_e64 v5, v117, -1, s1
	s_clause 0x2
	scratch_store_b32 v2, v7, off
	scratch_store_b32 v3, v12, off
	;; [unrolled: 1-line block ×3, first 2 shown]
; %bb.69:
	s_or_b32 exec_lo, exec_lo, s0
	s_clause 0x1
	scratch_load_b128 v[2:5], off, off offset:56
	scratch_load_b128 v[10:13], off, off offset:72
	s_waitcnt vmcnt(1)
	scratch_store_b128 off, v[2:5], off offset:16
	s_waitcnt vmcnt(0)
	scratch_store_b128 off, v[10:13], off offset:32
	s_clause 0x1
	scratch_load_b32 v2, off, off offset:88
	scratch_load_b32 v113, off, off offset:96
	s_waitcnt vmcnt(1)
	scratch_store_b32 off, v2, off offset:48
	s_clause 0x7
	scratch_load_b128 v[4:7], off, off offset:496
	scratch_load_b128 v[8:11], off, off offset:512
	;; [unrolled: 1-line block ×8, first 2 shown]
	s_waitcnt vmcnt(8)
	v_cmp_eq_u32_e32 vcc_lo, 1, v113
	v_cmp_eq_u32_e64 s0, 2, v113
	v_dual_cndmask_b32 v2, v223, v227 :: v_dual_cndmask_b32 v3, v222, v226
	v_cmp_eq_u32_e32 vcc_lo, 3, v113
	s_delay_alu instid0(VALU_DEP_2) | instskip(NEXT) | instid1(VALU_DEP_3)
	v_cndmask_b32_e64 v2, v2, v225, s0
	v_cndmask_b32_e64 v3, v3, v224, s0
	v_cmp_lt_i32_e64 s0, -1, v113
	s_delay_alu instid0(VALU_DEP_2) | instskip(SKIP_1) | instid1(VALU_DEP_2)
	v_dual_cndmask_b32 v2, v2, v98 :: v_dual_cndmask_b32 v3, v3, v97
	v_cmp_eq_u32_e32 vcc_lo, 4, v113
	v_dual_cndmask_b32 v2, v2, v108 :: v_dual_cndmask_b32 v3, v3, v107
	v_cmp_eq_u32_e32 vcc_lo, 5, v113
	s_delay_alu instid0(VALU_DEP_2) | instskip(SKIP_2) | instid1(VALU_DEP_2)
	v_dual_cndmask_b32 v2, v2, v135 :: v_dual_cndmask_b32 v3, v3, v146
	v_cmp_eq_u32_e32 vcc_lo, 6, v113
	s_waitcnt vmcnt(4)
	v_cndmask_b32_e32 v2, v2, v17, vcc_lo
	s_clause 0x7
	scratch_load_b128 v[4:7], off, off offset:752
	scratch_load_b128 v[8:11], off, off offset:768
	;; [unrolled: 1-line block ×8, first 2 shown]
	s_waitcnt vmcnt(4)
	v_cndmask_b32_e32 v3, v3, v16, vcc_lo
	s_clause 0x7
	scratch_load_b128 v[4:7], off, off offset:368
	scratch_load_b128 v[8:11], off, off offset:384
	;; [unrolled: 1-line block ×8, first 2 shown]
	v_cmp_eq_u32_e32 vcc_lo, 7, v113
	s_waitcnt vmcnt(4)
	v_cndmask_b32_e32 v2, v2, v19, vcc_lo
	s_clause 0x7
	scratch_load_b128 v[4:7], off, off offset:624
	scratch_load_b128 v[8:11], off, off offset:640
	;; [unrolled: 1-line block ×8, first 2 shown]
	s_waitcnt vmcnt(4)
	v_cndmask_b32_e32 v3, v3, v18, vcc_lo
	s_clause 0x8
	scratch_load_b128 v[4:7], off, off offset:240
	scratch_load_b128 v[8:11], off, off offset:256
	;; [unrolled: 1-line block ×8, first 2 shown]
	scratch_load_b32 v114, off, off offset:100
	v_cmp_eq_u32_e32 vcc_lo, 8, v113
	s_waitcnt vmcnt(8)
	v_mov_b32_e32 v6, -1
	v_mov_b32_e32 v7, -1
	s_waitcnt vmcnt(6)
	v_dual_mov_b32 v13, -1 :: v_dual_mov_b32 v14, -1
	scratch_store_b32 off, v113, off offset:104
	s_waitcnt vmcnt(4)
	v_dual_cndmask_b32 v4, v3, v52 :: v_dual_cndmask_b32 v5, v2, v21
	v_mov_b32_e32 v2, 0
	v_mov_b32_e32 v3, 0
	v_dual_mov_b32 v11, v7 :: v_dual_mov_b32 v10, v6
	s_waitcnt vmcnt(0)
	scratch_store_b32 off, v114, off offset:108
	s_and_saveexec_b32 s5, s0
	s_cbranch_execz .LBB0_73
; %bb.70:
	s_clause 0x7
	scratch_load_b128 v[15:18], off, off offset:240
	scratch_load_b128 v[19:22], off, off offset:256
	;; [unrolled: 1-line block ×8, first 2 shown]
	v_dual_mov_b32 v13, -1 :: v_dual_mov_b32 v6, -1
	v_dual_mov_b32 v7, v113 :: v_dual_mov_b32 v10, -1
	v_mov_b32_e32 v14, -1
	s_mov_b32 s6, 0
	s_waitcnt vmcnt(3)
	v_mov_b32_e32 v18, v32
	s_clause 0x7
	scratch_load_b128 v[19:22], off, off offset:368
	scratch_load_b128 v[23:26], off, off offset:384
	;; [unrolled: 1-line block ×8, first 2 shown]
	v_dual_mov_b32 v12, v5 :: v_dual_mov_b32 v11, v4
	s_waitcnt vmcnt(4)
	v_mov_b32_e32 v19, v34
	s_clause 0xf
	scratch_load_b128 v[20:23], off, off offset:496
	scratch_load_b128 v[24:27], off, off offset:512
	;; [unrolled: 1-line block ×16, first 2 shown]
	s_waitcnt vmcnt(4)
	v_dual_mov_b32 v21, v33 :: v_dual_mov_b32 v22, v67
	s_clause 0x7
	scratch_load_b128 v[53:56], off, off offset:752
	scratch_load_b128 v[57:60], off, off offset:768
	;; [unrolled: 1-line block ×8, first 2 shown]
	s_waitcnt vmcnt(4)
	v_mov_b32_e32 v23, v65
.LBB0_71:                               ; =>This Inner Loop Header: Depth=1
	s_delay_alu instid0(VALU_DEP_1) | instskip(SKIP_4) | instid1(VALU_DEP_1)
	v_lshl_add_u32 v2, v7, 2, v228
	scratch_load_b32 v17, v2, off
	s_waitcnt vmcnt(0)
	v_cmp_gt_i32_e32 vcc_lo, 0, v17
	v_cndmask_b32_e32 v20, v17, v113, vcc_lo
	v_cmp_eq_u32_e64 s1, 1, v20
	v_cmp_eq_u32_e64 s2, 2, v20
	s_delay_alu instid0(VALU_DEP_2) | instskip(SKIP_2) | instid1(VALU_DEP_3)
	v_cndmask_b32_e64 v2, v223, v227, s1
	v_cndmask_b32_e64 v3, v222, v226, s1
	v_cmp_eq_u32_e64 s1, 3, v20
	v_cndmask_b32_e64 v2, v2, v225, s2
	s_delay_alu instid0(VALU_DEP_3) | instskip(NEXT) | instid1(VALU_DEP_2)
	v_cndmask_b32_e64 v3, v3, v224, s2
	v_cndmask_b32_e64 v2, v2, v98, s1
	s_delay_alu instid0(VALU_DEP_2) | instskip(SKIP_1) | instid1(VALU_DEP_1)
	v_cndmask_b32_e64 v3, v3, v97, s1
	v_cmp_eq_u32_e64 s1, 4, v20
	v_cndmask_b32_e64 v2, v2, v108, s1
	s_delay_alu instid0(VALU_DEP_3) | instskip(SKIP_1) | instid1(VALU_DEP_1)
	v_cndmask_b32_e64 v3, v3, v107, s1
	v_cmp_eq_u32_e64 s1, 5, v20
	v_cndmask_b32_e64 v2, v2, v135, s1
	s_delay_alu instid0(VALU_DEP_3) | instskip(SKIP_1) | instid1(VALU_DEP_1)
	;; [unrolled: 4-line block ×4, first 2 shown]
	v_cndmask_b32_e64 v3, v3, v22, s1
	v_cmp_eq_u32_e64 s1, 8, v20
	v_cndmask_b32_e64 v16, v2, v18, s1
	s_delay_alu instid0(VALU_DEP_3) | instskip(SKIP_1) | instid1(VALU_DEP_2)
	v_cndmask_b32_e64 v15, v3, v52, s1
	v_dual_mov_b32 v2, v11 :: v_dual_mov_b32 v3, v12
	v_cmp_gt_f64_e64 s2, 0, v[15:16]
	v_cmp_le_f64_e64 s4, 0, v[15:16]
	s_delay_alu instid0(VALU_DEP_3) | instskip(SKIP_2) | instid1(VALU_DEP_3)
	v_cmp_le_f64_e64 s1, 0, v[2:3]
	v_cmp_gt_f64_e64 s3, 0, v[2:3]
	v_dual_mov_b32 v11, v15 :: v_dual_mov_b32 v12, v16
	s_and_b32 s1, s1, s2
	s_delay_alu instid0(VALU_DEP_2)
	s_and_b32 s2, s3, s4
	v_cndmask_b32_e64 v10, v10, v20, s1
	v_cndmask_b32_e64 v14, v14, v20, s2
	v_cndmask_b32_e64 v13, v13, v7, s1
	v_cndmask_b32_e64 v6, v6, v7, s2
	v_mov_b32_e32 v7, v17
	s_or_b32 s6, vcc_lo, s6
	s_delay_alu instid0(SALU_CYCLE_1)
	s_and_not1_b32 exec_lo, exec_lo, s6
	s_cbranch_execnz .LBB0_71
; %bb.72:
	s_or_b32 exec_lo, exec_lo, s6
.LBB0_73:
	s_delay_alu instid0(SALU_CYCLE_1) | instskip(SKIP_3) | instid1(VALU_DEP_3)
	s_or_b32 exec_lo, exec_lo, s5
	v_cmp_lt_i32_e64 s1, -1, v13
	v_dual_mov_b32 v7, -1 :: v_dual_mov_b32 v16, -1
	v_mov_b32_e32 v31, -1
	s_and_saveexec_b32 s23, s1
	s_cbranch_execz .LBB0_75
; %bb.74:
	s_clause 0xf
	scratch_load_b128 v[15:18], off, off offset:496
	scratch_load_b128 v[19:22], off, off offset:512
	;; [unrolled: 1-line block ×16, first 2 shown]
	v_cmp_eq_u32_e64 s2, 1, v10
	v_cmp_eq_u32_e64 s3, 2, v10
	;; [unrolled: 1-line block ×5, first 2 shown]
	v_cndmask_b32_e64 v11, v223, v227, s2
	v_cmp_eq_u32_e64 s7, 6, v10
	v_cmp_eq_u32_e64 s8, 7, v10
	v_cmp_eq_u32_e64 s9, 8, v10
	v_cndmask_b32_e64 v10, v222, v226, s2
	v_cndmask_b32_e64 v11, v11, v225, s3
	v_cmp_eq_u32_e64 s11, 1, v13
	v_cmp_eq_u32_e64 s12, 2, v13
	v_cmp_eq_u32_e64 s13, 3, v13
	v_cndmask_b32_e64 v10, v10, v224, s3
	;; [unrolled: 5-line block ×5, first 2 shown]
	v_cmp_eq_u32_e64 s14, 4, v114
	s_waitcnt vmcnt(12)
	v_mov_b32_e32 v86, v28
	s_clause 0x7
	scratch_load_b128 v[15:18], off, off offset:752
	scratch_load_b128 v[19:22], off, off offset:768
	;; [unrolled: 1-line block ×8, first 2 shown]
	s_waitcnt vmcnt(4)
	v_mov_b32_e32 v77, v27
	s_clause 0x7
	scratch_load_b128 v[15:18], off, off offset:624
	scratch_load_b128 v[19:22], off, off offset:640
	;; [unrolled: 1-line block ×8, first 2 shown]
	v_mov_b32_e32 v91, v52
	v_cndmask_b32_e64 v11, v11, v86, s7
	v_cndmask_b32_e64 v10, v10, v77, s7
	s_delay_alu instid0(VALU_DEP_2)
	v_cndmask_b32_e64 v11, v11, v69, s8
	s_waitcnt vmcnt(4)
	v_mov_b32_e32 v76, v29
	s_clause 0x7
	scratch_load_b128 v[15:18], off, off offset:240
	scratch_load_b128 v[19:22], off, off offset:256
	;; [unrolled: 1-line block ×8, first 2 shown]
	v_cndmask_b32_e64 v10, v10, v76, s8
	s_delay_alu instid0(VALU_DEP_1) | instskip(SKIP_1) | instid1(VALU_DEP_1)
	v_cndmask_b32_e64 v61, v10, v91, s9
	v_cndmask_b32_e64 v10, v223, v227, s11
	;; [unrolled: 1-line block ×3, first 2 shown]
	s_delay_alu instid0(VALU_DEP_1) | instskip(NEXT) | instid1(VALU_DEP_1)
	v_cndmask_b32_e64 v10, v10, v98, s13
	v_cndmask_b32_e64 v10, v10, v108, s15
	s_delay_alu instid0(VALU_DEP_1) | instskip(NEXT) | instid1(VALU_DEP_1)
	v_cndmask_b32_e64 v10, v10, v135, s16
	v_cndmask_b32_e64 v10, v10, v86, s17
	s_delay_alu instid0(VALU_DEP_1) | instskip(SKIP_2) | instid1(VALU_DEP_1)
	v_cndmask_b32_e64 v10, v10, v69, s18
	s_waitcnt vmcnt(3)
	v_mov_b32_e32 v18, v32
	v_cndmask_b32_e64 v62, v11, v18, s9
	v_cndmask_b32_e64 v11, v222, v226, s11
	;; [unrolled: 1-line block ×3, first 2 shown]
	s_delay_alu instid0(VALU_DEP_2) | instskip(NEXT) | instid1(VALU_DEP_1)
	v_cndmask_b32_e64 v11, v11, v224, s12
	v_cndmask_b32_e64 v11, v11, v97, s13
	s_delay_alu instid0(VALU_DEP_1) | instskip(NEXT) | instid1(VALU_DEP_1)
	v_cndmask_b32_e64 v11, v11, v107, s15
	v_cndmask_b32_e64 v11, v11, v146, s16
	s_delay_alu instid0(VALU_DEP_1) | instskip(NEXT) | instid1(VALU_DEP_1)
	v_cndmask_b32_e64 v11, v11, v77, s17
	v_cndmask_b32_e64 v11, v11, v76, s18
	s_delay_alu instid0(VALU_DEP_1) | instskip(SKIP_1) | instid1(VALU_DEP_2)
	v_cndmask_b32_e64 v63, v11, v91, s19
	v_add_f64 v[10:11], -v[61:62], 0
	v_add_f64 v[15:16], v[63:64], -v[61:62]
	s_delay_alu instid0(VALU_DEP_1) | instskip(NEXT) | instid1(VALU_DEP_1)
	v_div_scale_f64 v[20:21], null, v[15:16], v[15:16], v[10:11]
	v_rcp_f64_e32 v[22:23], v[20:21]
	s_waitcnt_depctr 0xfff
	v_fma_f64 v[24:25], -v[20:21], v[22:23], 1.0
	s_delay_alu instid0(VALU_DEP_1) | instskip(NEXT) | instid1(VALU_DEP_1)
	v_fma_f64 v[22:23], v[22:23], v[24:25], v[22:23]
	v_fma_f64 v[24:25], -v[20:21], v[22:23], 1.0
	s_delay_alu instid0(VALU_DEP_1) | instskip(SKIP_1) | instid1(VALU_DEP_1)
	v_fma_f64 v[22:23], v[22:23], v[24:25], v[22:23]
	v_div_scale_f64 v[24:25], vcc_lo, v[10:11], v[15:16], v[10:11]
	v_mul_f64 v[26:27], v[24:25], v[22:23]
	s_delay_alu instid0(VALU_DEP_1) | instskip(NEXT) | instid1(VALU_DEP_1)
	v_fma_f64 v[20:21], -v[20:21], v[26:27], v[24:25]
	v_div_fmas_f64 v[20:21], v[20:21], v[22:23], v[26:27]
	v_cmp_eq_u32_e32 vcc_lo, 8, v114
	s_delay_alu instid0(VALU_DEP_2)
	v_div_fixup_f64 v[65:66], v[20:21], v[15:16], v[10:11]
	s_clause 0x7
	scratch_load_b128 v[19:22], off, off offset:2160
	scratch_load_b128 v[23:26], off, off offset:2176
	scratch_load_b128 v[27:30], off, off offset:2192
	scratch_load_b128 v[31:34], off, off offset:2208
	scratch_load_b128 v[35:38], off, off offset:2224
	scratch_load_b128 v[39:42], off, off offset:2240
	scratch_load_b128 v[43:46], off, off offset:2256
	scratch_load_b128 v[47:50], off, off offset:2272
	v_cndmask_b32_e64 v10, v242, v246, s11
	v_cndmask_b32_e64 v11, v241, v245, s11
	;; [unrolled: 1-line block ×3, first 2 shown]
	s_delay_alu instid0(VALU_DEP_3) | instskip(NEXT) | instid1(VALU_DEP_3)
	v_cndmask_b32_e64 v10, v10, v250, s12
	v_cndmask_b32_e64 v11, v11, v249, s12
	s_delay_alu instid0(VALU_DEP_3) | instskip(NEXT) | instid1(VALU_DEP_3)
	v_cndmask_b32_e64 v15, v15, v249, s3
	v_cndmask_b32_e64 v10, v10, v193, s13
	;; [unrolled: 3-line block ×4, first 2 shown]
	s_delay_alu instid0(VALU_DEP_3)
	v_cndmask_b32_e64 v15, v15, v125, s5
	v_add_f64 v[67:68], -v[65:66], 1.0
	s_waitcnt vmcnt(5)
	v_mov_b32_e32 v53, v30
	s_clause 0x7
	scratch_load_b128 v[19:22], off, off offset:2672
	scratch_load_b128 v[23:26], off, off offset:2688
	;; [unrolled: 1-line block ×8, first 2 shown]
	v_cndmask_b32_e64 v10, v10, v53, s16
	s_waitcnt vmcnt(5)
	v_mov_b32_e32 v56, v29
	s_clause 0x7
	scratch_load_b128 v[19:22], off, off offset:2032
	scratch_load_b128 v[23:26], off, off offset:2048
	scratch_load_b128 v[27:30], off, off offset:2064
	scratch_load_b128 v[31:34], off, off offset:2080
	scratch_load_b128 v[35:38], off, off offset:2096
	scratch_load_b128 v[39:42], off, off offset:2112
	scratch_load_b128 v[43:46], off, off offset:2128
	scratch_load_b128 v[47:50], off, off offset:2144
	s_waitcnt vmcnt(4)
	v_mov_b32_e32 v52, v32
	s_clause 0x7
	scratch_load_b128 v[19:22], off, off offset:2544
	scratch_load_b128 v[23:26], off, off offset:2560
	scratch_load_b128 v[27:30], off, off offset:2576
	scratch_load_b128 v[31:34], off, off offset:2592
	scratch_load_b128 v[35:38], off, off offset:2608
	scratch_load_b128 v[39:42], off, off offset:2624
	scratch_load_b128 v[43:46], off, off offset:2640
	scratch_load_b128 v[47:50], off, off offset:2656
	;; [unrolled: 11-line block ×3, first 2 shown]
	v_cndmask_b32_e64 v11, v11, v56, s16
	v_cndmask_b32_e64 v15, v15, v56, s6
	s_delay_alu instid0(VALU_DEP_2) | instskip(NEXT) | instid1(VALU_DEP_2)
	v_cndmask_b32_e64 v11, v11, v55, s17
	v_cndmask_b32_e64 v15, v15, v55, s7
	s_waitcnt vmcnt(4)
	v_mov_b32_e32 v51, v34
	s_clause 0x7
	scratch_load_b128 v[19:22], off, off offset:2416
	scratch_load_b128 v[23:26], off, off offset:2432
	;; [unrolled: 1-line block ×8, first 2 shown]
	v_cndmask_b32_e64 v10, v10, v52, s17
	s_delay_alu instid0(VALU_DEP_1)
	v_cndmask_b32_e64 v10, v10, v51, s18
	s_waitcnt vmcnt(4)
	v_mov_b32_e32 v54, v33
	s_clause 0x7
	scratch_load_b128 v[19:22], off, off offset:112
	scratch_load_b128 v[23:26], off, off offset:128
	;; [unrolled: 1-line block ×8, first 2 shown]
	s_waitcnt vmcnt(3)
	v_mov_b32_e32 v17, v36
	s_clause 0x7
	scratch_load_b128 v[19:22], off, off offset:2288
	scratch_load_b128 v[23:26], off, off offset:2304
	;; [unrolled: 1-line block ×8, first 2 shown]
	v_cndmask_b32_e64 v12, v11, v54, s18
	v_cndmask_b32_e64 v15, v15, v54, s8
	s_waitcnt vmcnt(6)
	v_cndmask_b32_e64 v23, v243, v239, s2
	v_cndmask_b32_e64 v11, v10, v17, s19
	;; [unrolled: 1-line block ×3, first 2 shown]
	s_delay_alu instid0(VALU_DEP_3) | instskip(NEXT) | instid1(VALU_DEP_2)
	v_cndmask_b32_e64 v23, v23, v237, s3
	v_cndmask_b32_e64 v25, v25, v237, s12
	s_waitcnt vmcnt(3)
	v_mov_b32_e32 v19, v35
	s_delay_alu instid0(VALU_DEP_1) | instskip(SKIP_2) | instid1(VALU_DEP_2)
	v_cndmask_b32_e64 v10, v12, v19, s19
	v_cndmask_b32_e64 v12, v242, v246, s2
	;; [unrolled: 1-line block ×4, first 2 shown]
	s_delay_alu instid0(VALU_DEP_1) | instskip(NEXT) | instid1(VALU_DEP_1)
	v_cndmask_b32_e64 v12, v12, v193, s4
	v_cndmask_b32_e64 v12, v12, v126, s5
	s_delay_alu instid0(VALU_DEP_1) | instskip(NEXT) | instid1(VALU_DEP_1)
	v_cndmask_b32_e64 v12, v12, v53, s6
	v_cndmask_b32_e64 v12, v12, v52, s7
	;; [unrolled: 3-line block ×3, first 2 shown]
	s_delay_alu instid0(VALU_DEP_1) | instskip(NEXT) | instid1(VALU_DEP_1)
	v_mul_f64 v[15:16], v[15:16], v[67:68]
	v_fma_f64 v[70:71], v[10:11], v[65:66], v[15:16]
	v_cndmask_b32_e64 v16, v244, v240, s2
	s_delay_alu instid0(VALU_DEP_1) | instskip(NEXT) | instid1(VALU_DEP_3)
	v_cndmask_b32_e64 v16, v16, v238, s3
	v_cndmask_b32_e32 v22, v17, v71, vcc_lo
	s_delay_alu instid0(VALU_DEP_4)
	v_cndmask_b32_e64 v11, v54, v70, s20
	v_cndmask_b32_e64 v12, v55, v70, s21
	;; [unrolled: 1-line block ×8, first 2 shown]
	s_clause 0xf
	scratch_load_b128 v[29:32], off, off offset:880
	scratch_load_b128 v[33:36], off, off offset:896
	;; [unrolled: 1-line block ×16, first 2 shown]
	v_cndmask_b32_e32 v10, v19, v70, vcc_lo
	s_waitcnt vmcnt(13)
	v_cndmask_b32_e64 v37, v220, v218, s11
	s_waitcnt vmcnt(11)
	v_mul_f64 v[47:48], v[61:62], v[67:68]
	v_cndmask_b32_e64 v105, v125, v70, s14
	v_cndmask_b32_e64 v109, v126, v71, s14
	;; [unrolled: 1-line block ×3, first 2 shown]
	s_delay_alu instid0(VALU_DEP_1) | instskip(NEXT) | instid1(VALU_DEP_1)
	v_cndmask_b32_e64 v37, v37, v174, s13
	v_cndmask_b32_e64 v37, v37, v184, s15
	s_delay_alu instid0(VALU_DEP_1) | instskip(NEXT) | instid1(VALU_DEP_1)
	v_cndmask_b32_e64 v37, v37, v96, s16
	v_cndmask_b32_e64 v37, v37, v95, s17
	s_delay_alu instid0(VALU_DEP_1)
	v_cndmask_b32_e64 v37, v37, v92, s18
	v_cndmask_b32_e64 v16, v16, v36, s4
	s_waitcnt vmcnt(5)
	v_mov_b32_e32 v31, v197
	s_clause 0x7
	scratch_load_b128 v[186:189], off, off offset:1776
	scratch_load_b128 v[190:193], off, off offset:1792
	;; [unrolled: 1-line block ×8, first 2 shown]
	v_cndmask_b32_e64 v23, v23, v35, s4
	v_cndmask_b32_e64 v25, v25, v35, s13
	;; [unrolled: 1-line block ×3, first 2 shown]
	s_delay_alu instid0(VALU_DEP_3) | instskip(NEXT) | instid1(VALU_DEP_3)
	v_cndmask_b32_e64 v23, v23, v111, s5
	v_cndmask_b32_e64 v25, v25, v111, s15
	s_delay_alu instid0(VALU_DEP_3)
	v_cndmask_b32_e64 v16, v16, v31, s6
	s_waitcnt vmcnt(5)
	v_mov_b32_e32 v33, v196
	s_clause 0x7
	scratch_load_b128 v[186:189], off, off offset:1136
	scratch_load_b128 v[190:193], off, off offset:1152
	scratch_load_b128 v[194:197], off, off offset:1168
	scratch_load_b128 v[198:201], off, off offset:1184
	scratch_load_b128 v[202:205], off, off offset:1200
	scratch_load_b128 v[206:209], off, off offset:1216
	scratch_load_b128 v[210:213], off, off offset:1232
	scratch_load_b128 v[214:217], off, off offset:1248
	s_waitcnt vmcnt(4)
	v_mov_b32_e32 v28, v199
	s_clause 0x7
	scratch_load_b128 v[186:189], off, off offset:1648
	scratch_load_b128 v[190:193], off, off offset:1664
	scratch_load_b128 v[194:197], off, off offset:1680
	scratch_load_b128 v[198:201], off, off offset:1696
	scratch_load_b128 v[202:205], off, off offset:1712
	scratch_load_b128 v[206:209], off, off offset:1728
	scratch_load_b128 v[210:213], off, off offset:1744
	scratch_load_b128 v[214:217], off, off offset:1760
	v_cndmask_b32_e64 v23, v23, v33, s6
	v_cndmask_b32_e64 v25, v25, v33, s16
	v_cndmask_b32_e64 v16, v16, v28, s7
	s_waitcnt vmcnt(4)
	v_mov_b32_e32 v32, v198
	s_clause 0x7
	scratch_load_b128 v[186:189], off, off offset:1008
	scratch_load_b128 v[190:193], off, off offset:1024
	scratch_load_b128 v[194:197], off, off offset:1040
	scratch_load_b128 v[198:201], off, off offset:1056
	scratch_load_b128 v[202:205], off, off offset:1072
	scratch_load_b128 v[206:209], off, off offset:1088
	scratch_load_b128 v[210:213], off, off offset:1104
	scratch_load_b128 v[214:217], off, off offset:1120
	s_waitcnt vmcnt(4)
	v_mov_b32_e32 v27, v201
	s_clause 0x7
	scratch_load_b128 v[186:189], off, off offset:1520
	scratch_load_b128 v[190:193], off, off offset:1536
	scratch_load_b128 v[194:197], off, off offset:1552
	scratch_load_b128 v[198:201], off, off offset:1568
	scratch_load_b128 v[202:205], off, off offset:1584
	scratch_load_b128 v[206:209], off, off offset:1600
	scratch_load_b128 v[210:213], off, off offset:1616
	scratch_load_b128 v[214:217], off, off offset:1632
	v_cndmask_b32_e64 v23, v23, v32, s7
	v_cndmask_b32_e64 v25, v25, v32, s17
	;; [unrolled: 25-line block ×3, first 2 shown]
	v_cndmask_b32_e64 v24, v16, v19, s9
	v_cndmask_b32_e64 v16, v244, v240, s11
	s_delay_alu instid0(VALU_DEP_1) | instskip(NEXT) | instid1(VALU_DEP_1)
	v_cndmask_b32_e64 v16, v16, v238, s12
	v_cndmask_b32_e64 v16, v16, v36, s13
	s_delay_alu instid0(VALU_DEP_1) | instskip(NEXT) | instid1(VALU_DEP_1)
	;; [unrolled: 3-line block ×3, first 2 shown]
	v_cndmask_b32_e64 v16, v16, v28, s17
	v_cndmask_b32_e64 v16, v16, v27, s18
	s_delay_alu instid0(VALU_DEP_1) | instskip(SKIP_1) | instid1(VALU_DEP_1)
	v_cndmask_b32_e64 v26, v16, v19, s19
	v_cndmask_b32_e64 v16, v221, v219, s2
	v_cndmask_b32_e64 v16, v16, v253, s3
	s_delay_alu instid0(VALU_DEP_1) | instskip(NEXT) | instid1(VALU_DEP_1)
	v_cndmask_b32_e64 v16, v16, v175, s4
	v_cndmask_b32_e64 v16, v16, v185, s5
	s_delay_alu instid0(VALU_DEP_1) | instskip(NEXT) | instid1(VALU_DEP_1)
	v_cndmask_b32_e64 v16, v16, v90, s6
	v_cndmask_b32_e64 v16, v16, v89, s7
	s_delay_alu instid0(VALU_DEP_1)
	v_cndmask_b32_e64 v16, v16, v88, s8
	s_waitcnt vmcnt(3)
	v_mov_b32_e32 v29, v202
	s_clause 0x7
	scratch_load_b128 v[186:189], off, off offset:2928
	scratch_load_b128 v[190:193], off, off offset:2944
	;; [unrolled: 1-line block ×8, first 2 shown]
	v_cndmask_b32_e64 v23, v23, v29, s9
	v_cndmask_b32_e64 v25, v25, v29, s19
	s_delay_alu instid0(VALU_DEP_2) | instskip(NEXT) | instid1(VALU_DEP_1)
	v_mul_f64 v[23:24], v[23:24], v[67:68]
	v_fma_f64 v[72:73], v[25:26], v[65:66], v[23:24]
	s_delay_alu instid0(VALU_DEP_1) | instskip(SKIP_2) | instid1(VALU_DEP_4)
	v_cndmask_b32_e64 v54, v35, v72, s10
	v_cndmask_b32_e64 v35, v220, v218, s2
	v_cndmask_b32_e64 v25, v30, v72, s20
	v_cndmask_b32_e32 v30, v19, v73, vcc_lo
	v_cndmask_b32_e32 v26, v29, v72, vcc_lo
	v_cndmask_b32_e64 v29, v27, v73, s20
	v_cndmask_b32_e64 v35, v35, v252, s3
	;; [unrolled: 1-line block ×12, first 2 shown]
	v_cmp_eq_u32_e64 s12, 1, v6
	v_cmp_eq_u32_e64 s4, 4, v14
	v_cmp_eq_u32_e64 s3, 5, v14
	v_cndmask_b32_e64 v16, v16, v175, s13
	v_cndmask_b32_e64 v35, v35, v96, s6
	v_cmp_eq_u32_e64 s13, 5, v6
	v_cmp_eq_u32_e64 s11, 6, v6
	v_cmp_eq_u32_e64 s2, 6, v14
	v_cndmask_b32_e64 v16, v16, v185, s15
	v_cndmask_b32_e64 v35, v35, v95, s7
	;; [unrolled: 5-line block ×3, first 2 shown]
	v_cmp_eq_u32_e64 s16, 2, v6
	v_cmp_eq_u32_e64 s8, 8, v6
	;; [unrolled: 1-line block ×3, first 2 shown]
	v_cndmask_b32_e64 v16, v16, v89, s17
	v_cmp_eq_u32_e64 s17, 3, v6
	v_cndmask_b32_e64 v51, v111, v72, s14
	v_cndmask_b32_e64 v55, v112, v73, s14
	s_delay_alu instid0(VALU_DEP_4) | instskip(SKIP_1) | instid1(VALU_DEP_2)
	v_cndmask_b32_e64 v16, v16, v88, s18
	v_cmp_eq_u32_e64 s18, 2, v14
	v_cndmask_b32_e64 v41, v16, v87, s19
	v_lshlrev_b32_e32 v16, 2, v114
	s_delay_alu instid0(VALU_DEP_1) | instskip(SKIP_3) | instid1(VALU_DEP_1)
	v_add3_u32 v16, 16, v16, 40
	scratch_load_b32 v16, v16, off
	s_waitcnt vmcnt(4)
	v_mov_b32_e32 v31, v202
	v_cndmask_b32_e64 v35, v35, v31, s9
	v_cndmask_b32_e64 v40, v37, v31, s19
	v_cmp_eq_u32_e64 s19, 1, v14
	v_cmp_eq_u32_e64 s9, 7, v6
	s_delay_alu instid0(VALU_DEP_4) | instskip(NEXT) | instid1(VALU_DEP_1)
	v_mul_f64 v[35:36], v[35:36], v[67:68]
	v_fma_f64 v[74:75], v[40:41], v[65:66], v[35:36]
	v_fma_f64 v[65:66], v[63:64], v[65:66], v[47:48]
	s_delay_alu instid0(VALU_DEP_2) | instskip(SKIP_1) | instid1(VALU_DEP_4)
	v_cndmask_b32_e64 v37, v92, v74, s20
	v_cndmask_b32_e64 v36, v95, v74, s21
	;; [unrolled: 1-line block ×8, first 2 shown]
	v_cmp_eq_u32_e64 s20, 1, v114
	v_cmp_eq_u32_e64 s21, 0, v114
	v_cndmask_b32_e64 v35, v96, v74, s22
	v_cndmask_b32_e64 v41, v90, v75, s22
	;; [unrolled: 1-line block ×4, first 2 shown]
	v_cmp_eq_u32_e64 s22, 2, v114
	v_cndmask_b32_e64 v61, v226, v65, s20
	v_cndmask_b32_e64 v64, v227, v66, s20
	v_cndmask_b32_e64 v63, v223, v66, s21
	v_cndmask_b32_e64 v62, v222, v65, s21
	v_cndmask_b32_e32 v50, v91, v65, vcc_lo
	v_cndmask_b32_e64 v52, v107, v65, s14
	v_cndmask_b32_e64 v53, v108, v66, s14
	;; [unrolled: 1-line block ×13, first 2 shown]
	v_cndmask_b32_e32 v60, v18, v66, vcc_lo
	v_cndmask_b32_e64 v66, v225, v66, s22
	v_cndmask_b32_e64 v76, v76, v65, s16
	;; [unrolled: 1-line block ×3, first 2 shown]
	v_cndmask_b32_e32 v46, v87, v75, vcc_lo
	v_cndmask_b32_e32 v40, v31, v74, vcc_lo
	v_cndmask_b32_e64 v70, v70, v66, s16
	v_cndmask_b32_e64 v77, v77, v66, s18
	;; [unrolled: 1-line block ×35, first 2 shown]
	v_add_f64 v[80:81], -v[76:77], 0
	v_add_f64 v[82:83], v[78:79], -v[76:77]
	v_cndmask_b32_e64 v99, v219, v75, s20
	v_cndmask_b32_e64 v100, v221, v75, s21
	;; [unrolled: 1-line block ×6, first 2 shown]
	s_delay_alu instid0(VALU_DEP_4) | instskip(SKIP_2) | instid1(VALU_DEP_2)
	v_cndmask_b32_e64 v9, v9, v12, s11
	v_div_scale_f64 v[84:85], null, v[82:83], v[82:83], v[80:81]
	v_div_scale_f64 v[90:91], vcc_lo, v[80:81], v[82:83], v[80:81]
	v_rcp_f64_e32 v[86:87], v[84:85]
	s_waitcnt_depctr 0xfff
	v_fma_f64 v[88:89], -v[84:85], v[86:87], 1.0
	s_delay_alu instid0(VALU_DEP_1) | instskip(NEXT) | instid1(VALU_DEP_1)
	v_fma_f64 v[86:87], v[86:87], v[88:89], v[86:87]
	v_fma_f64 v[88:89], -v[84:85], v[86:87], 1.0
	s_delay_alu instid0(VALU_DEP_1) | instskip(NEXT) | instid1(VALU_DEP_1)
	v_fma_f64 v[86:87], v[86:87], v[88:89], v[86:87]
	v_mul_f64 v[88:89], v[90:91], v[86:87]
	s_delay_alu instid0(VALU_DEP_1) | instskip(SKIP_3) | instid1(VALU_DEP_3)
	v_fma_f64 v[84:85], -v[84:85], v[88:89], v[90:91]
	v_cndmask_b32_e64 v91, v240, v73, s20
	v_cndmask_b32_e64 v90, v238, v73, s22
	;; [unrolled: 1-line block ×5, first 2 shown]
	s_delay_alu instid0(VALU_DEP_1)
	v_cndmask_b32_e64 v18, v18, v90, s18
	v_div_fmas_f64 v[84:85], v[84:85], v[86:87], v[88:89]
	v_cndmask_b32_e64 v86, v242, v71, s21
	v_cndmask_b32_e64 v88, v239, v72, s20
	;; [unrolled: 1-line block ×5, first 2 shown]
	s_waitcnt vmcnt(0)
	v_cmp_eq_u32_e32 vcc_lo, 3, v16
	v_cndmask_b32_e64 v19, v89, v88, s19
	s_delay_alu instid0(VALU_DEP_1) | instskip(SKIP_1) | instid1(VALU_DEP_2)
	v_cndmask_b32_e64 v103, v19, v87, s18
	v_cndmask_b32_e64 v19, v70, v90, s16
	;; [unrolled: 1-line block ×3, first 2 shown]
	s_delay_alu instid0(VALU_DEP_2) | instskip(NEXT) | instid1(VALU_DEP_1)
	v_cndmask_b32_e64 v19, v19, v56, s17
	v_cndmask_b32_e64 v19, v19, v55, s15
	s_delay_alu instid0(VALU_DEP_1) | instskip(NEXT) | instid1(VALU_DEP_1)
	v_cndmask_b32_e64 v19, v19, v27, s13
	v_cndmask_b32_e64 v19, v19, v28, s11
	v_div_fixup_f64 v[80:81], v[84:85], v[82:83], v[80:81]
	v_cndmask_b32_e64 v85, v246, v71, s20
	v_cndmask_b32_e64 v84, v250, v71, s22
	;; [unrolled: 1-line block ×37, first 2 shown]
	v_add_f64 v[0:1], -v[80:81], 1.0
	v_cndmask_b32_e64 v104, v71, v97, s7
	v_cndmask_b32_e64 v73, v73, v44, s11
	v_cndmask_b32_e64 v74, v74, v36, s11
	v_cndmask_b32_e64 v9, v8, v22, s8
	v_cndmask_b32_e64 v8, v102, v10, s8
	v_cndmask_b32_e64 v102, v18, v56, s7
	v_cndmask_b32_e64 v18, v70, v26, s8
	v_cndmask_b32_e64 v70, v73, v45, s9
	v_cndmask_b32_e64 v73, v74, v37, s9
	v_cndmask_b32_e64 v74, v75, v109, s4
	v_cndmask_b32_e64 v75, v101, v105, s4
	v_cndmask_b32_e64 v72, v72, v93, s7
	v_cndmask_b32_e64 v71, v70, v46, s8
	v_cndmask_b32_e64 v70, v73, v40, s8
	v_cndmask_b32_e64 v73, v102, v55, s4
	v_cndmask_b32_e64 v74, v74, v17, s3
	v_cndmask_b32_e64 v75, v75, v15, s3
	v_cndmask_b32_e64 v101, v103, v51, s4
	v_cndmask_b32_e64 v103, v72, v82, s4
	v_cndmask_b32_e64 v73, v73, v27, s3
	v_cndmask_b32_e64 v74, v74, v20, s2
	v_cndmask_b32_e64 v75, v75, v12, s2
	v_cndmask_b32_e64 v72, v101, v23, s3
	v_cndmask_b32_e64 v102, v104, v83, s4
	v_cndmask_b32_e64 v101, v73, v28, s2
	v_cndmask_b32_e64 v74, v74, v21, s5
	v_cndmask_b32_e64 v75, v75, v11, s5
	v_cmp_eq_u32_e64 s4, 1, v16
	s_delay_alu instid0(VALU_DEP_3) | instskip(SKIP_1) | instid1(VALU_DEP_1)
	v_cndmask_b32_e64 v73, v74, v22, s6
	v_cndmask_b32_e64 v74, v102, v41, s3
	;; [unrolled: 1-line block ×3, first 2 shown]
	v_mul_f64 v[8:9], v[8:9], v[0:1]
	v_mul_f64 v[18:19], v[18:19], v[0:1]
	;; [unrolled: 1-line block ×4, first 2 shown]
	v_cndmask_b32_e64 v76, v72, v24, s2
	v_cndmask_b32_e64 v72, v75, v10, s6
	;; [unrolled: 1-line block ×4, first 2 shown]
	v_cmp_eq_u32_e64 s3, 2, v16
	v_cndmask_b32_e64 v76, v76, v25, s5
	s_delay_alu instid0(VALU_DEP_4)
	v_cndmask_b32_e64 v75, v75, v36, s2
	v_cmp_eq_u32_e64 s2, 4, v16
	v_fma_f64 v[72:73], v[72:73], v[80:81], v[8:9]
	v_cndmask_b32_e64 v9, v77, v30, s6
	v_cndmask_b32_e64 v8, v76, v26, s6
	;; [unrolled: 1-line block ×4, first 2 shown]
	v_cmp_eq_u32_e64 s5, 0, v16
	s_delay_alu instid0(VALU_DEP_4) | instskip(SKIP_2) | instid1(VALU_DEP_2)
	v_fma_f64 v[74:75], v[8:9], v[80:81], v[18:19]
	v_lshlrev_b32_e32 v6, 2, v16
	v_cndmask_b32_e64 v9, v76, v46, s6
	v_add3_u32 v6, 16, v6, 40
	scratch_load_b32 v6, v6, off
	v_cndmask_b32_e32 v193, v110, v73, vcc_lo
	v_cndmask_b32_e64 v8, v77, v40, s6
	v_fma_f64 v[76:77], v[78:79], v[80:81], v[0:1]
	v_cndmask_b32_e64 v126, v109, v73, s2
	v_cndmask_b32_e64 v125, v105, v72, s2
	v_cndmask_b32_e32 v192, v106, v72, vcc_lo
	v_fma_f64 v[70:71], v[8:9], v[80:81], v[70:71]
	v_dual_cndmask_b32 v9, v56, v75 :: v_dual_cndmask_b32 v8, v54, v74
	v_cndmask_b32_e64 v112, v55, v75, s2
	v_cndmask_b32_e64 v111, v51, v74, s2
	v_cndmask_b32_e64 v250, v84, v73, s3
	v_cndmask_b32_e64 v249, v69, v72, s3
	v_cndmask_b32_e64 v246, v85, v73, s4
	v_cndmask_b32_e64 v245, v68, v72, s4
	v_cndmask_b32_e64 v238, v90, v75, s3
	v_cndmask_b32_e64 v237, v87, v74, s3
	v_cndmask_b32_e64 v240, v91, v75, s4
	v_cndmask_b32_e64 v239, v88, v74, s4
	v_cndmask_b32_e64 v242, v86, v73, s5
	v_cndmask_b32_e64 v241, v67, v72, s5
	v_cndmask_b32_e64 v244, v92, v75, s5
	v_cndmask_b32_e64 v243, v89, v74, s5
	v_cndmask_b32_e64 v108, v53, v77, s2
	v_cndmask_b32_e64 v107, v52, v76, s2
	v_cndmask_b32_e64 v225, v66, v77, s3
	v_cndmask_b32_e64 v224, v65, v76, s3
	v_cndmask_b32_e64 v185, v83, v71, s2
	v_cndmask_b32_e64 v184, v82, v70, s2
	v_cndmask_b32_e32 v175, v97, v71, vcc_lo
	v_cndmask_b32_e32 v174, v93, v70, vcc_lo
	v_cndmask_b32_e64 v253, v98, v71, s3
	v_cndmask_b32_e64 v252, v94, v70, s3
	;; [unrolled: 1-line block ×4, first 2 shown]
	v_dual_cndmask_b32 v98, v43, v77 :: v_dual_cndmask_b32 v97, v42, v76
	v_cndmask_b32_e64 v227, v64, v77, s4
	v_cndmask_b32_e64 v226, v61, v76, s4
	;; [unrolled: 1-line block ×6, first 2 shown]
	s_waitcnt vmcnt(0)
	s_clause 0x8
	scratch_store_b32 off, v6, off offset:100
	scratch_store_b128 off, v[2:5], off offset:880
	scratch_store_b128 off, v[6:9], off offset:896
	;; [unrolled: 1-line block ×8, first 2 shown]
	v_mov_b32_e32 v31, v114
	v_cmp_eq_u32_e64 s2, 8, v16
	v_cmp_eq_u32_e32 vcc_lo, 7, v16
	v_cmp_eq_u32_e64 s3, 6, v16
	v_cmp_eq_u32_e64 s4, 5, v16
	s_delay_alu instid0(VALU_DEP_4)
	v_cndmask_b32_e64 v18, v22, v73, s2
	s_clause 0x7
	scratch_store_b128 off, v[1:4], off offset:112
	scratch_store_b128 off, v[5:8], off offset:128
	;; [unrolled: 1-line block ×8, first 2 shown]
	v_cndmask_b32_e64 v87, v46, v71, s2
	v_cndmask_b32_e32 v88, v45, v71, vcc_lo
	v_cndmask_b32_e32 v92, v37, v70, vcc_lo
	v_cndmask_b32_e64 v89, v44, v71, s3
	v_cndmask_b32_e64 v90, v41, v71, s4
	;; [unrolled: 1-line block ×6, first 2 shown]
	s_clause 0x7
	scratch_store_b128 off, v[2:5], off offset:2288
	scratch_store_b128 off, v[6:9], off offset:2304
	;; [unrolled: 1-line block ×8, first 2 shown]
	v_cndmask_b32_e32 v18, v21, v73, vcc_lo
	s_clause 0x7
	scratch_store_b128 off, v[3:6], off offset:1904
	scratch_store_b128 off, v[7:10], off offset:1920
	;; [unrolled: 1-line block ×8, first 2 shown]
	v_cndmask_b32_e32 v18, v11, v72, vcc_lo
	s_clause 0x7
	scratch_store_b128 off, v[4:7], off offset:2416
	scratch_store_b128 off, v[8:11], off offset:2432
	scratch_store_b128 off, v[12:15], off offset:2448
	scratch_store_b128 off, v[16:19], off offset:2464
	scratch_store_b128 off, v[20:23], off offset:2480
	scratch_store_b128 off, v[24:27], off offset:2496
	scratch_store_b128 off, v[28:31], off offset:2512
	scratch_store_b128 off, v[32:35], off offset:2528
	v_cndmask_b32_e64 v18, v20, v73, s3
	s_clause 0x7
	scratch_store_b128 off, v[5:8], off offset:2032
	scratch_store_b128 off, v[9:12], off offset:2048
	scratch_store_b128 off, v[13:16], off offset:2064
	scratch_store_b128 off, v[17:20], off offset:2080
	scratch_store_b128 off, v[21:24], off offset:2096
	scratch_store_b128 off, v[25:28], off offset:2112
	scratch_store_b128 off, v[29:32], off offset:2128
	scratch_store_b128 off, v[33:36], off offset:2144
	v_cndmask_b32_e64 v12, v12, v72, s3
	;; [unrolled: 10-line block ×3, first 2 shown]
	v_cndmask_b32_e64 v96, v35, v70, s4
	v_cndmask_b32_e64 v11, v17, v73, s4
	s_clause 0x7
	scratch_store_b128 off, v[0:3], off offset:2160
	scratch_store_b128 off, v[4:7], off offset:2176
	scratch_store_b128 off, v[8:11], off offset:2192
	scratch_store_b128 off, v[12:15], off offset:2208
	scratch_store_b128 off, v[16:19], off offset:2224
	scratch_store_b128 off, v[20:23], off offset:2240
	scratch_store_b128 off, v[24:27], off offset:2256
	scratch_store_b128 off, v[28:31], off offset:2272
	v_cndmask_b32_e64 v10, v15, v72, s4
	s_clause 0x7
	scratch_store_b128 off, v[0:3], off offset:2672
	scratch_store_b128 off, v[4:7], off offset:2688
	scratch_store_b128 off, v[8:11], off offset:2704
	scratch_store_b128 off, v[12:15], off offset:2720
	scratch_store_b128 off, v[16:19], off offset:2736
	scratch_store_b128 off, v[20:23], off offset:2752
	scratch_store_b128 off, v[24:27], off offset:2768
	scratch_store_b128 off, v[28:31], off offset:2784
	;; [unrolled: 10-line block ×4, first 2 shown]
	v_cndmask_b32_e32 v15, v29, v75, vcc_lo
	s_clause 0x7
	scratch_store_b128 off, v[0:3], off offset:1008
	scratch_store_b128 off, v[4:7], off offset:1024
	;; [unrolled: 1-line block ×8, first 2 shown]
	v_cndmask_b32_e32 v15, v25, v74, vcc_lo
	s_clause 0x7
	scratch_store_b128 off, v[1:4], off offset:1520
	scratch_store_b128 off, v[5:8], off offset:1536
	scratch_store_b128 off, v[9:12], off offset:1552
	scratch_store_b128 off, v[13:16], off offset:1568
	scratch_store_b128 off, v[17:20], off offset:1584
	scratch_store_b128 off, v[21:24], off offset:1600
	scratch_store_b128 off, v[25:28], off offset:1616
	scratch_store_b128 off, v[29:32], off offset:1632
	v_cndmask_b32_e64 v15, v28, v75, s3
	s_clause 0x7
	scratch_store_b128 off, v[2:5], off offset:1136
	scratch_store_b128 off, v[6:9], off offset:1152
	scratch_store_b128 off, v[10:13], off offset:1168
	scratch_store_b128 off, v[14:17], off offset:1184
	scratch_store_b128 off, v[18:21], off offset:1200
	scratch_store_b128 off, v[22:25], off offset:1216
	scratch_store_b128 off, v[26:29], off offset:1232
	scratch_store_b128 off, v[30:33], off offset:1248
	v_cndmask_b32_e64 v12, v24, v74, s3
	s_clause 0x7
	scratch_store_b128 off, v[0:3], off offset:1648
	scratch_store_b128 off, v[4:7], off offset:1664
	scratch_store_b128 off, v[8:11], off offset:1680
	scratch_store_b128 off, v[12:15], off offset:1696
	scratch_store_b128 off, v[16:19], off offset:1712
	scratch_store_b128 off, v[20:23], off offset:1728
	scratch_store_b128 off, v[24:27], off offset:1744
	scratch_store_b128 off, v[28:31], off offset:1760
	v_cndmask_b32_e64 v11, v27, v75, s4
	s_clause 0x7
	scratch_store_b128 off, v[0:3], off offset:1264
	scratch_store_b128 off, v[4:7], off offset:1280
	scratch_store_b128 off, v[8:11], off offset:1296
	scratch_store_b128 off, v[12:15], off offset:1312
	scratch_store_b128 off, v[16:19], off offset:1328
	scratch_store_b128 off, v[20:23], off offset:1344
	scratch_store_b128 off, v[24:27], off offset:1360
	scratch_store_b128 off, v[28:31], off offset:1376
	v_cndmask_b32_e64 v10, v23, v74, s4
	s_clause 0x7
	scratch_store_b128 off, v[0:3], off offset:1776
	scratch_store_b128 off, v[4:7], off offset:1792
	scratch_store_b128 off, v[8:11], off offset:1808
	scratch_store_b128 off, v[12:15], off offset:1824
	scratch_store_b128 off, v[16:19], off offset:1840
	scratch_store_b128 off, v[20:23], off offset:1856
	scratch_store_b128 off, v[24:27], off offset:1872
	scratch_store_b128 off, v[28:31], off offset:1888
	v_cndmask_b32_e64 v17, v40, v70, s2
	s_clause 0x7
	scratch_store_b128 off, v[1:4], off offset:2928
	scratch_store_b128 off, v[5:8], off offset:2944
	scratch_store_b128 off, v[9:12], off offset:2960
	scratch_store_b128 off, v[13:16], off offset:2976
	scratch_store_b128 off, v[17:20], off offset:2992
	scratch_store_b128 off, v[21:24], off offset:3008
	scratch_store_b128 off, v[25:28], off offset:3024
	scratch_store_b128 off, v[29:32], off offset:3040
	v_cndmask_b32_e64 v17, v60, v77, s2
	s_clause 0x7
	scratch_store_b128 off, v[0:3], off offset:240
	scratch_store_b128 off, v[4:7], off offset:256
	scratch_store_b128 off, v[8:11], off offset:272
	scratch_store_b128 off, v[12:15], off offset:288
	scratch_store_b128 off, v[16:19], off offset:304
	scratch_store_b128 off, v[20:23], off offset:320
	scratch_store_b128 off, v[24:27], off offset:336
	scratch_store_b128 off, v[28:31], off offset:352
	v_cndmask_b32_e32 v15, v59, v77, vcc_lo
	s_clause 0x7
	scratch_store_b128 off, v[0:3], off offset:368
	scratch_store_b128 off, v[4:7], off offset:384
	;; [unrolled: 1-line block ×8, first 2 shown]
	v_cndmask_b32_e32 v15, v49, v76, vcc_lo
	s_clause 0x7
	scratch_store_b128 off, v[1:4], off offset:624
	scratch_store_b128 off, v[5:8], off offset:640
	;; [unrolled: 1-line block ×8, first 2 shown]
	v_cndmask_b32_e64 v15, v58, v77, s3
	s_clause 0x7
	scratch_store_b128 off, v[2:5], off offset:496
	scratch_store_b128 off, v[6:9], off offset:512
	;; [unrolled: 1-line block ×8, first 2 shown]
	v_cndmask_b32_e64 v12, v48, v76, s3
	s_clause 0x7
	scratch_store_b128 off, v[0:3], off offset:752
	scratch_store_b128 off, v[4:7], off offset:768
	;; [unrolled: 1-line block ×8, first 2 shown]
.LBB0_75:
	s_or_b32 exec_lo, exec_lo, s23
	s_mov_b32 s2, 0
	scratch_store_b32 off, v7, off offset:96
	s_mov_b32 s4, exec_lo
	s_clause 0x7
	scratch_load_b128 v[53:56], off, off offset:112
	scratch_load_b128 v[57:60], off, off offset:128
	scratch_load_b128 v[61:64], off, off offset:144
	scratch_load_b128 v[65:68], off, off offset:160
	scratch_load_b128 v[69:72], off, off offset:176
	scratch_load_b128 v[73:76], off, off offset:192
	scratch_load_b128 v[77:80], off, off offset:208
	scratch_load_b128 v[81:84], off, off offset:224
	s_and_b32 s3, s4, s0
	s_waitcnt vmcnt(3)
	v_mov_b32_e32 v110, v70
	s_mov_b32 exec_lo, s3
	s_cbranch_execz .LBB0_85
; %bb.76:
	v_cmp_gt_f64_e32 vcc_lo, 0, v[4:5]
	v_mov_b32_e32 v4, v113
	s_mov_b32 s5, 0
	s_branch .LBB0_78
.LBB0_77:                               ;   in Loop: Header=BB0_78 Depth=1
	s_or_b32 exec_lo, exec_lo, s2
	v_cmp_gt_i32_e64 s2, 0, v5
	v_mov_b32_e32 v4, v5
	s_delay_alu instid0(VALU_DEP_2) | instskip(NEXT) | instid1(SALU_CYCLE_1)
	s_or_b32 s5, s2, s5
	s_and_not1_b32 exec_lo, exec_lo, s5
	s_cbranch_execz .LBB0_84
.LBB0_78:                               ; =>This Inner Loop Header: Depth=1
	v_mov_b32_e32 v17, v52
	s_clause 0x7
	scratch_load_b128 v[32:35], off, off offset:496
	scratch_load_b128 v[36:39], off, off offset:512
	;; [unrolled: 1-line block ×8, first 2 shown]
	v_cmp_eq_u32_e64 s2, 1, v4
	v_cmp_eq_u32_e64 s3, 2, v4
	s_delay_alu instid0(VALU_DEP_2) | instskip(SKIP_2) | instid1(VALU_DEP_3)
	v_cndmask_b32_e64 v5, v223, v227, s2
	v_cndmask_b32_e64 v6, v222, v226, s2
	v_cmp_eq_u32_e64 s2, 3, v4
	v_cndmask_b32_e64 v5, v5, v225, s3
	s_delay_alu instid0(VALU_DEP_3) | instskip(SKIP_1) | instid1(VALU_DEP_2)
	v_cndmask_b32_e64 v6, v6, v224, s3
	s_mov_b32 s3, 0
	v_cndmask_b32_e64 v5, v5, v98, s2
	s_delay_alu instid0(VALU_DEP_2) | instskip(SKIP_1) | instid1(VALU_DEP_1)
	v_cndmask_b32_e64 v6, v6, v97, s2
	v_cmp_eq_u32_e64 s2, 4, v4
	v_cndmask_b32_e64 v5, v5, v108, s2
	s_delay_alu instid0(VALU_DEP_3) | instskip(SKIP_1) | instid1(VALU_DEP_1)
	v_cndmask_b32_e64 v6, v6, v107, s2
	v_cmp_eq_u32_e64 s2, 5, v4
	v_cndmask_b32_e64 v5, v5, v135, s2
	s_delay_alu instid0(VALU_DEP_3) | instskip(SKIP_2) | instid1(VALU_DEP_1)
	v_cndmask_b32_e64 v6, v6, v146, s2
	v_cmp_eq_u32_e64 s2, 6, v4
	s_waitcnt vmcnt(4)
	v_cndmask_b32_e64 v5, v5, v45, s2
	s_clause 0x7
	scratch_load_b128 v[32:35], off, off offset:752
	scratch_load_b128 v[36:39], off, off offset:768
	;; [unrolled: 1-line block ×8, first 2 shown]
	s_waitcnt vmcnt(4)
	v_cndmask_b32_e64 v6, v6, v44, s2
	s_clause 0x7
	scratch_load_b128 v[32:35], off, off offset:368
	scratch_load_b128 v[36:39], off, off offset:384
	;; [unrolled: 1-line block ×8, first 2 shown]
	v_cmp_eq_u32_e64 s2, 7, v4
	s_waitcnt vmcnt(4)
	s_delay_alu instid0(VALU_DEP_1)
	v_cndmask_b32_e64 v5, v5, v47, s2
	s_clause 0x7
	scratch_load_b128 v[32:35], off, off offset:624
	scratch_load_b128 v[36:39], off, off offset:640
	;; [unrolled: 1-line block ×8, first 2 shown]
	s_waitcnt vmcnt(4)
	v_cndmask_b32_e64 v7, v6, v46, s2
	s_clause 0x7
	scratch_load_b128 v[32:35], off, off offset:240
	scratch_load_b128 v[36:39], off, off offset:256
	;; [unrolled: 1-line block ×8, first 2 shown]
	v_cmp_eq_u32_e64 s2, 8, v4
	s_waitcnt vmcnt(2)
	v_mov_b32_e32 v52, v17
	s_delay_alu instid0(VALU_DEP_2) | instskip(NEXT) | instid1(VALU_DEP_2)
	v_cndmask_b32_e64 v6, v5, v49, s2
	v_cndmask_b32_e64 v5, v7, v52, s2
	v_lshl_add_u32 v7, v4, 2, v228
	s_delay_alu instid0(VALU_DEP_2) | instskip(SKIP_2) | instid1(SALU_CYCLE_1)
	v_cmp_ngt_f64_e64 s2, 0, v[5:6]
	scratch_load_b32 v5, v7, off
                                        ; implicit-def: $vgpr6
	s_and_saveexec_b32 s6, s2
	s_xor_b32 s6, exec_lo, s6
	s_cbranch_execz .LBB0_80
; %bb.79:                               ;   in Loop: Header=BB0_78 Depth=1
	scratch_load_b32 v6, off, off offset:96
                                        ; implicit-def: $vgpr7
	s_waitcnt vmcnt(0)
	v_cmp_eq_u32_e64 s2, -1, v6
	v_mov_b32_e32 v6, 0x60
	s_delay_alu instid0(VALU_DEP_2)
	s_and_b32 s3, s2, exec_lo
.LBB0_80:                               ;   in Loop: Header=BB0_78 Depth=1
	s_and_not1_saveexec_b32 s2, s6
	s_cbranch_execz .LBB0_82
; %bb.81:                               ;   in Loop: Header=BB0_78 Depth=1
	scratch_load_b32 v10, off, off offset:100
	v_mov_b32_e32 v6, 0x64
	s_or_b32 s3, s3, exec_lo
	s_waitcnt vmcnt(0)
	scratch_store_b32 v7, v10, off
.LBB0_82:                               ;   in Loop: Header=BB0_78 Depth=1
	s_or_b32 exec_lo, exec_lo, s2
	s_delay_alu instid0(SALU_CYCLE_1)
	s_mov_b32 s2, exec_lo
	s_clause 0x7
	scratch_load_b128 v[53:56], off, off offset:112
	scratch_load_b128 v[57:60], off, off offset:128
	;; [unrolled: 1-line block ×8, first 2 shown]
	s_and_b32 s3, s2, s3
	s_waitcnt vmcnt(3)
	v_mov_b32_e32 v110, v70
	s_mov_b32 exec_lo, s3
	s_cbranch_execz .LBB0_77
; %bb.83:                               ;   in Loop: Header=BB0_78 Depth=1
	scratch_store_b32 v6, v4, off
	s_branch .LBB0_77
.LBB0_84:
	s_or_b32 exec_lo, exec_lo, s5
	s_delay_alu instid0(SALU_CYCLE_1)
	s_and_b32 s2, vcc_lo, exec_lo
.LBB0_85:
	s_or_b32 exec_lo, exec_lo, s4
	s_and_saveexec_b32 s3, s1
; %bb.86:
	v_cmp_gt_f64_e32 vcc_lo, 0, v[2:3]
	v_lshlrev_b32_e32 v2, 2, v13
	v_lshlrev_b32_e32 v3, 2, v31
	;; [unrolled: 1-line block ×3, first 2 shown]
	s_delay_alu instid0(VALU_DEP_3) | instskip(NEXT) | instid1(VALU_DEP_3)
	v_add3_u32 v2, 16, v2, 40
	v_add3_u32 v3, 16, v3, 40
	s_delay_alu instid0(VALU_DEP_3) | instskip(SKIP_1) | instid1(SALU_CYCLE_1)
	v_add3_u32 v4, 16, v4, 40
	s_or_b32 s1, vcc_lo, s2
	v_cndmask_b32_e64 v5, v14, -1, s1
	s_clause 0x2
	scratch_store_b32 v2, v31, off
	scratch_store_b32 v3, v16, off
	scratch_store_b32 v4, v5, off
; %bb.87:
	s_or_b32 exec_lo, exec_lo, s3
	scratch_load_b32 v14, off, off offset:96
	v_mov_b32_e32 v115, 0
	v_mov_b32_e32 v116, 0
	s_delay_alu instid0(VALU_DEP_2) | instskip(SKIP_2) | instid1(VALU_DEP_4)
	v_mov_b32_e32 v10, v115
	v_mov_b32_e32 v6, v115
	;; [unrolled: 1-line block ×3, first 2 shown]
	v_dual_mov_b32 v2, v115 :: v_dual_mov_b32 v3, v116
	v_mov_b32_e32 v11, v116
	v_mov_b32_e32 v7, v116
	;; [unrolled: 1-line block ×3, first 2 shown]
	s_mov_b32 s8, exec_lo
	s_waitcnt vmcnt(0)
	v_cmpx_lt_i32_e32 -1, v14
	s_cbranch_execz .LBB0_93
; %bb.88:
	v_lshlrev_b32_e32 v2, 2, v14
	s_mov_b32 s9, exec_lo
	s_delay_alu instid0(VALU_DEP_1) | instskip(SKIP_3) | instid1(VALU_DEP_1)
	v_add3_u32 v2, 16, v2, 40
	scratch_load_b32 v0, v2, off
	s_waitcnt vmcnt(0)
	v_lshlrev_b32_e32 v2, 2, v0
	v_add3_u32 v2, 16, v2, 40
	scratch_load_b32 v40, v2, off
	v_mov_b32_e32 v2, 0
	v_mov_b32_e32 v3, 0
	s_delay_alu instid0(VALU_DEP_1)
	v_dual_mov_b32 v5, v3 :: v_dual_mov_b32 v4, v2
	v_dual_mov_b32 v7, v3 :: v_dual_mov_b32 v6, v2
	;; [unrolled: 1-line block ×3, first 2 shown]
	s_waitcnt vmcnt(0)
	v_cmpx_lt_i32_e32 -1, v40
	s_cbranch_execz .LBB0_92
; %bb.89:
	v_cmp_eq_u32_e32 vcc_lo, 1, v14
	v_mov_b32_e32 v91, v52
	s_clause 0x7
	scratch_load_b128 v[41:44], off, off offset:2160
	scratch_load_b128 v[45:48], off, off offset:2176
	;; [unrolled: 1-line block ×8, first 2 shown]
	v_cmp_eq_u32_e64 s1, 2, v14
	v_cmp_eq_u32_e64 s2, 3, v14
	v_cndmask_b32_e32 v2, v242, v246, vcc_lo
	v_cmp_eq_u32_e64 s3, 4, v14
	v_cmp_eq_u32_e64 s4, 5, v14
	;; [unrolled: 1-line block ×5, first 2 shown]
	v_cndmask_b32_e64 v2, v2, v250, s1
	v_dual_mov_b32 v93, v125 :: v_dual_mov_b32 v94, v126
	s_mov_b32 s10, 0
	v_mov_b32_e32 v38, v111
	s_delay_alu instid0(VALU_DEP_3) | instskip(SKIP_1) | instid1(VALU_DEP_2)
	v_cndmask_b32_e64 v2, v2, v193, s2
	v_mov_b32_e32 v39, v112
	v_cndmask_b32_e64 v2, v2, v94, s3
	s_waitcnt vmcnt(5)
	v_mov_b32_e32 v119, v52
	s_clause 0x7
	scratch_load_b128 v[41:44], off, off offset:2032
	scratch_load_b128 v[45:48], off, off offset:2048
	;; [unrolled: 1-line block ×8, first 2 shown]
	s_waitcnt vmcnt(4)
	v_mov_b32_e32 v118, v54
	s_clause 0xf
	scratch_load_b128 v[41:44], off, off offset:1904
	scratch_load_b128 v[45:48], off, off offset:1920
	;; [unrolled: 1-line block ×16, first 2 shown]
	v_cndmask_b32_e64 v2, v2, v119, s4
	s_waitcnt vmcnt(12)
	v_dual_mov_b32 v53, v90 :: v_dual_mov_b32 v52, v89
	v_mov_b32_e32 v42, v87
	s_delay_alu instid0(VALU_DEP_3)
	v_cndmask_b32_e64 v2, v2, v118, s5
	v_mov_b32_e32 v117, v56
	s_waitcnt vmcnt(5)
	v_mov_b32_e32 v123, v14
	s_clause 0x7
	scratch_load_b128 v[4:7], off, off offset:2544
	scratch_load_b128 v[8:11], off, off offset:2560
	;; [unrolled: 1-line block ×8, first 2 shown]
	s_waitcnt vmcnt(4)
	v_dual_cndmask_b32 v3, v241, v245 :: v_dual_mov_b32 v122, v16
	s_clause 0x7
	scratch_load_b128 v[4:7], off, off offset:2416
	scratch_load_b128 v[8:11], off, off offset:2432
	;; [unrolled: 1-line block ×8, first 2 shown]
	v_cndmask_b32_e64 v3, v3, v249, s1
	s_delay_alu instid0(VALU_DEP_1) | instskip(NEXT) | instid1(VALU_DEP_1)
	v_cndmask_b32_e64 v3, v3, v192, s2
	v_cndmask_b32_e64 v3, v3, v93, s3
	s_waitcnt vmcnt(4)
	v_mov_b32_e32 v121, v18
	s_clause 0xf
	scratch_load_b128 v[4:7], off, off offset:2288
	scratch_load_b128 v[8:11], off, off offset:2304
	;; [unrolled: 1-line block ×16, first 2 shown]
	s_waitcnt vmcnt(11)
	v_mov_b32_e32 v120, v20
	s_clause 0x7
	scratch_load_b128 v[4:7], off, off offset:1264
	scratch_load_b128 v[8:11], off, off offset:1280
	;; [unrolled: 1-line block ×8, first 2 shown]
	v_cndmask_b32_e64 v3, v3, v123, s4
	s_waitcnt vmcnt(14)
	v_mov_b32_e32 v102, v61
	v_cndmask_b32_e64 v2, v2, v117, s6
	v_mov_b32_e32 v101, v60
	v_cndmask_b32_e64 v3, v3, v122, s5
	s_delay_alu instid0(VALU_DEP_3) | instskip(SKIP_1) | instid1(VALU_DEP_3)
	v_cndmask_b32_e64 v100, v2, v110, s7
	v_cndmask_b32_e32 v2, v244, v240, vcc_lo
	v_cndmask_b32_e64 v3, v3, v121, s6
	s_delay_alu instid0(VALU_DEP_2) | instskip(NEXT) | instid1(VALU_DEP_2)
	v_cndmask_b32_e64 v2, v2, v238, s1
	v_cndmask_b32_e64 v99, v3, v120, s7
	s_delay_alu instid0(VALU_DEP_2) | instskip(NEXT) | instid1(VALU_DEP_1)
	v_cndmask_b32_e64 v2, v2, v102, s2
	v_cndmask_b32_e64 v2, v2, v39, s3
	s_waitcnt vmcnt(5)
	v_mov_b32_e32 v103, v15
	s_clause 0x7
	scratch_load_b128 v[4:7], off, off offset:1776
	scratch_load_b128 v[8:11], off, off offset:1792
	scratch_load_b128 v[12:15], off, off offset:1808
	scratch_load_b128 v[16:19], off, off offset:1824
	scratch_load_b128 v[20:23], off, off offset:1840
	scratch_load_b128 v[24:27], off, off offset:1856
	scratch_load_b128 v[28:31], off, off offset:1872
	scratch_load_b128 v[32:35], off, off offset:1888
	s_waitcnt vmcnt(5)
	v_mov_b32_e32 v109, v14
	s_clause 0x7
	scratch_load_b128 v[4:7], off, off offset:1136
	scratch_load_b128 v[8:11], off, off offset:1152
	;; [unrolled: 1-line block ×8, first 2 shown]
	s_waitcnt vmcnt(4)
	v_dual_cndmask_b32 v3, v243, v239 :: v_dual_mov_b32 v104, v17
	s_clause 0x7
	scratch_load_b128 v[4:7], off, off offset:1648
	scratch_load_b128 v[8:11], off, off offset:1664
	;; [unrolled: 1-line block ×8, first 2 shown]
	v_cndmask_b32_e64 v3, v3, v237, s1
	s_delay_alu instid0(VALU_DEP_1) | instskip(NEXT) | instid1(VALU_DEP_1)
	v_cndmask_b32_e64 v3, v3, v101, s2
	v_cndmask_b32_e64 v3, v3, v38, s3
	s_delay_alu instid0(VALU_DEP_1)
	v_cndmask_b32_e64 v3, v3, v109, s4
	s_waitcnt vmcnt(4)
	v_mov_b32_e32 v106, v16
	s_clause 0xf
	scratch_load_b128 v[4:7], off, off offset:1008
	scratch_load_b128 v[8:11], off, off offset:1024
	;; [unrolled: 1-line block ×16, first 2 shown]
	v_cndmask_b32_e64 v2, v2, v103, s4
	v_cndmask_b32_e64 v3, v3, v106, s5
	s_delay_alu instid0(VALU_DEP_2) | instskip(SKIP_4) | instid1(VALU_DEP_2)
	v_cndmask_b32_e64 v2, v2, v104, s5
	s_waitcnt vmcnt(12)
	v_mov_b32_e32 v105, v19
	s_waitcnt vmcnt(4)
	v_cndmask_b32_e64 v35, v3, v69, s6
	v_cndmask_b32_e64 v33, v2, v105, s6
	s_clause 0x7
	scratch_load_b128 v[1:4], off, off offset:2800
	scratch_load_b128 v[5:8], off, off offset:2816
	;; [unrolled: 1-line block ×8, first 2 shown]
	s_waitcnt vmcnt(7)
	v_cndmask_b32_e32 v2, v221, v219, vcc_lo
	s_delay_alu instid0(VALU_DEP_1) | instskip(NEXT) | instid1(VALU_DEP_1)
	v_cndmask_b32_e64 v2, v2, v253, s1
	v_cndmask_b32_e64 v2, v2, v175, s2
	s_delay_alu instid0(VALU_DEP_1) | instskip(SKIP_2) | instid1(VALU_DEP_1)
	v_cndmask_b32_e64 v2, v2, v185, s3
	s_waitcnt vmcnt(3)
	v_mov_b32_e32 v66, v18
	v_cndmask_b32_e64 v68, v33, v66, s7
	s_clause 0x7
	scratch_load_b128 v[3:6], off, off offset:1392
	scratch_load_b128 v[7:10], off, off offset:1408
	;; [unrolled: 1-line block ×8, first 2 shown]
	s_waitcnt vmcnt(6)
	v_mov_b32_e32 v6, v192
	v_cndmask_b32_e32 v3, v220, v218, vcc_lo
	v_cmp_eq_u32_e32 vcc_lo, 1, v0
	v_mov_b32_e32 v7, v193
	s_clause 0x7
	scratch_load_b128 v[186:189], off, off offset:2928
	scratch_load_b128 v[190:193], off, off offset:2944
	;; [unrolled: 1-line block ×8, first 2 shown]
	v_cndmask_b32_e64 v2, v2, v53, s4
	v_mov_b32_e32 v43, v88
	v_cndmask_b32_e64 v3, v3, v252, s1
	v_cmp_eq_u32_e64 s1, 2, v0
	s_waitcnt vmcnt(13)
	v_mov_b32_e32 v10, 0
	v_cndmask_b32_e64 v2, v2, v52, s5
	v_mov_b32_e32 v11, 0
	v_cndmask_b32_e64 v3, v3, v174, s2
	v_cmp_eq_u32_e64 s2, 3, v0
	s_delay_alu instid0(VALU_DEP_3) | instskip(NEXT) | instid1(VALU_DEP_3)
	v_dual_mov_b32 v4, v10 :: v_dual_mov_b32 v5, v11
	v_cndmask_b32_e64 v3, v3, v184, s3
	v_cmp_eq_u32_e64 s3, 4, v0
	s_delay_alu instid0(VALU_DEP_2) | instskip(SKIP_1) | instid1(VALU_DEP_2)
	v_cndmask_b32_e64 v3, v3, v96, s4
	v_cmp_eq_u32_e64 s4, 5, v0
	v_cndmask_b32_e64 v3, v3, v95, s5
	v_cmp_eq_u32_e64 s5, 6, v0
	s_delay_alu instid0(VALU_DEP_2)
	v_cndmask_b32_e64 v3, v3, v92, s6
	s_waitcnt vmcnt(11)
	v_cndmask_b32_e64 v67, v35, v19, s7
	s_waitcnt vmcnt(3)
	v_mov_b32_e32 v62, v202
	v_cndmask_b32_e64 v2, v2, v43, s6
	v_cmp_eq_u32_e64 s6, 7, v0
	s_delay_alu instid0(VALU_DEP_3) | instskip(NEXT) | instid1(VALU_DEP_3)
	v_cndmask_b32_e64 v20, v3, v62, s7
	v_cndmask_b32_e64 v21, v2, v42, s7
	v_cndmask_b32_e32 v2, v244, v240, vcc_lo
	v_cmp_eq_u32_e64 s7, 8, v0
	v_cndmask_b32_e32 v3, v243, v239, vcc_lo
	v_dual_mov_b32 v193, v7 :: v_dual_mov_b32 v192, v6
	s_delay_alu instid0(VALU_DEP_4)
	v_cndmask_b32_e64 v2, v2, v238, s1
	v_mul_f64 v[24:25], v[20:21], v[99:100]
	v_mul_f64 v[26:27], v[20:21], v[67:68]
	;; [unrolled: 1-line block ×3, first 2 shown]
	v_dual_mov_b32 v6, v10 :: v_dual_mov_b32 v7, v11
	v_cndmask_b32_e64 v2, v2, v102, s2
	s_delay_alu instid0(VALU_DEP_1) | instskip(NEXT) | instid1(VALU_DEP_1)
	v_cndmask_b32_e64 v2, v2, v39, s3
	v_cndmask_b32_e64 v2, v2, v103, s4
	s_delay_alu instid0(VALU_DEP_1) | instskip(NEXT) | instid1(VALU_DEP_1)
	v_cndmask_b32_e64 v2, v2, v104, s5
	v_cndmask_b32_e64 v2, v2, v105, s6
	s_delay_alu instid0(VALU_DEP_1) | instskip(SKIP_2) | instid1(VALU_DEP_2)
	v_cndmask_b32_e64 v23, v2, v66, s7
	v_cndmask_b32_e32 v2, v242, v246, vcc_lo
	v_cndmask_b32_e64 v3, v3, v237, s1
	v_cndmask_b32_e64 v2, v2, v250, s1
	s_delay_alu instid0(VALU_DEP_2) | instskip(NEXT) | instid1(VALU_DEP_2)
	v_cndmask_b32_e64 v3, v3, v101, s2
	v_cndmask_b32_e64 v2, v2, v193, s2
	s_delay_alu instid0(VALU_DEP_2) | instskip(NEXT) | instid1(VALU_DEP_2)
	;; [unrolled: 3-line block ×5, first 2 shown]
	v_cndmask_b32_e64 v3, v3, v69, s6
	v_cndmask_b32_e64 v2, v2, v117, s6
	s_delay_alu instid0(VALU_DEP_2) | instskip(SKIP_1) | instid1(VALU_DEP_3)
	v_cndmask_b32_e64 v22, v3, v19, s7
	v_cndmask_b32_e32 v3, v241, v245, vcc_lo
	v_cndmask_b32_e64 v31, v2, v110, s7
	v_cndmask_b32_e32 v2, v221, v219, vcc_lo
	s_delay_alu instid0(VALU_DEP_3) | instskip(SKIP_1) | instid1(VALU_DEP_2)
	v_cndmask_b32_e64 v3, v3, v249, s1
	v_add_f64 v[36:37], v[22:23], -v[67:68]
	v_cndmask_b32_e64 v3, v3, v192, s2
	s_delay_alu instid0(VALU_DEP_1) | instskip(NEXT) | instid1(VALU_DEP_1)
	v_cndmask_b32_e64 v3, v3, v93, s3
	v_cndmask_b32_e64 v3, v3, v123, s4
	s_delay_alu instid0(VALU_DEP_1) | instskip(NEXT) | instid1(VALU_DEP_1)
	v_cndmask_b32_e64 v3, v3, v122, s5
	v_cndmask_b32_e64 v3, v3, v121, s6
	s_delay_alu instid0(VALU_DEP_1) | instskip(SKIP_2) | instid1(VALU_DEP_3)
	v_cndmask_b32_e64 v30, v3, v120, s7
	v_cndmask_b32_e32 v3, v220, v218, vcc_lo
	v_cndmask_b32_e64 v2, v2, v253, s1
	v_add_f64 v[34:35], v[30:31], -v[99:100]
	s_delay_alu instid0(VALU_DEP_3) | instskip(NEXT) | instid1(VALU_DEP_3)
	v_cndmask_b32_e64 v3, v3, v252, s1
	v_cndmask_b32_e64 v2, v2, v175, s2
	s_delay_alu instid0(VALU_DEP_2) | instskip(NEXT) | instid1(VALU_DEP_2)
	v_cndmask_b32_e64 v3, v3, v174, s2
	v_cndmask_b32_e64 v2, v2, v185, s3
	s_delay_alu instid0(VALU_DEP_2) | instskip(NEXT) | instid1(VALU_DEP_2)
	;; [unrolled: 3-line block ×5, first 2 shown]
	v_cndmask_b32_e64 v3, v3, v92, s6
	v_cndmask_b32_e64 v33, v2, v42, s7
	s_delay_alu instid0(VALU_DEP_2)
	v_cndmask_b32_e64 v32, v3, v62, s7
	v_dual_mov_b32 v2, v10 :: v_dual_mov_b32 v3, v11
.LBB0_90:                               ; =>This Inner Loop Header: Depth=1
	v_cmp_eq_u32_e32 vcc_lo, 1, v40
	v_cmp_eq_u32_e64 s1, 2, v40
	v_cmp_eq_u32_e64 s2, 3, v40
	;; [unrolled: 1-line block ×4, first 2 shown]
	v_dual_cndmask_b32 v41, v242, v246 :: v_dual_cndmask_b32 v44, v241, v245
	v_cmp_eq_u32_e64 s5, 6, v40
	v_cmp_eq_u32_e64 s6, 7, v40
	;; [unrolled: 1-line block ×3, first 2 shown]
	s_delay_alu instid0(VALU_DEP_4)
	v_cndmask_b32_e64 v41, v41, v250, s1
	v_cndmask_b32_e64 v44, v44, v249, s1
	v_fma_f64 v[56:57], v[32:33], v[32:33], v[28:29]
	v_add_f64 v[58:59], v[20:21], v[32:33]
	v_cndmask_b32_e32 v46, v243, v239, vcc_lo
	v_cndmask_b32_e64 v41, v41, v193, s2
	v_cndmask_b32_e64 v44, v44, v192, s2
	s_delay_alu instid0(VALU_DEP_3) | instskip(NEXT) | instid1(VALU_DEP_3)
	v_cndmask_b32_e64 v46, v46, v237, s1
	v_cndmask_b32_e64 v41, v41, v94, s3
	s_delay_alu instid0(VALU_DEP_3) | instskip(NEXT) | instid1(VALU_DEP_3)
	;; [unrolled: 3-line block ×7, first 2 shown]
	v_cndmask_b32_e64 v46, v46, v106, s5
	v_cndmask_b32_e64 v45, v41, v110, s7
	s_delay_alu instid0(VALU_DEP_3) | instskip(SKIP_1) | instid1(VALU_DEP_4)
	v_cndmask_b32_e64 v44, v44, v120, s7
	v_cndmask_b32_e32 v41, v244, v240, vcc_lo
	v_cndmask_b32_e64 v46, v46, v69, s6
	s_delay_alu instid0(VALU_DEP_3) | instskip(NEXT) | instid1(VALU_DEP_3)
	v_add_f64 v[48:49], v[44:45], -v[99:100]
	v_cndmask_b32_e64 v41, v41, v238, s1
	s_delay_alu instid0(VALU_DEP_3) | instskip(NEXT) | instid1(VALU_DEP_2)
	v_cndmask_b32_e64 v46, v46, v19, s7
	v_cndmask_b32_e64 v41, v41, v102, s2
	s_delay_alu instid0(VALU_DEP_1) | instskip(NEXT) | instid1(VALU_DEP_1)
	v_cndmask_b32_e64 v41, v41, v39, s3
	v_cndmask_b32_e64 v41, v41, v103, s4
	s_delay_alu instid0(VALU_DEP_1) | instskip(NEXT) | instid1(VALU_DEP_1)
	;; [unrolled: 3-line block ×3, first 2 shown]
	v_cndmask_b32_e64 v47, v41, v66, s7
	v_add_f64 v[50:51], v[46:47], -v[67:68]
	v_mul_f64 v[36:37], v[48:49], v[36:37]
	s_delay_alu instid0(VALU_DEP_1) | instskip(SKIP_1) | instid1(VALU_DEP_1)
	v_fma_f64 v[34:35], v[50:51], v[34:35], -v[36:37]
	v_dual_cndmask_b32 v36, v221, v219 :: v_dual_cndmask_b32 v37, v220, v218
	v_cndmask_b32_e64 v36, v36, v253, s1
	s_delay_alu instid0(VALU_DEP_2) | instskip(NEXT) | instid1(VALU_DEP_2)
	v_cndmask_b32_e64 v37, v37, v252, s1
	v_cndmask_b32_e64 v36, v36, v175, s2
	s_delay_alu instid0(VALU_DEP_2) | instskip(NEXT) | instid1(VALU_DEP_2)
	v_cndmask_b32_e64 v37, v37, v174, s2
	;; [unrolled: 3-line block ×6, first 2 shown]
	v_cndmask_b32_e64 v55, v36, v42, s7
	s_delay_alu instid0(VALU_DEP_2) | instskip(SKIP_2) | instid1(VALU_DEP_3)
	v_cndmask_b32_e64 v54, v37, v62, s7
	v_add_f64 v[36:37], v[99:100], v[30:31]
	v_fma_f64 v[30:31], v[30:31], v[32:33], v[24:25]
	v_fma_f64 v[56:57], v[54:55], v[54:55], v[56:57]
	v_add_f64 v[58:59], v[54:55], v[58:59]
	s_delay_alu instid0(VALU_DEP_4) | instskip(NEXT) | instid1(VALU_DEP_4)
	v_add_f64 v[36:37], v[36:37], v[44:45]
	v_fma_f64 v[30:31], v[54:55], v[44:45], v[30:31]
	s_delay_alu instid0(VALU_DEP_4) | instskip(NEXT) | instid1(VALU_DEP_4)
	v_fma_f64 v[56:57], v[20:21], v[32:33], v[56:57]
	v_fma_f64 v[10:11], v[58:59], v[34:35], v[10:11]
	v_mul_f64 v[58:59], v[58:59], v[34:35]
	s_delay_alu instid0(VALU_DEP_3) | instskip(NEXT) | instid1(VALU_DEP_2)
	v_fma_f64 v[56:57], v[20:21], v[54:55], v[56:57]
	v_mul_f64 v[36:37], v[36:37], v[58:59]
	s_delay_alu instid0(VALU_DEP_2) | instskip(SKIP_2) | instid1(VALU_DEP_4)
	v_fma_f64 v[56:57], v[54:55], v[32:33], v[56:57]
	v_fma_f64 v[32:33], v[22:23], v[32:33], v[26:27]
	v_add_f64 v[22:23], v[67:68], v[22:23]
	v_fma_f64 v[30:31], v[30:31], v[34:35], v[36:37]
	v_dual_mov_b32 v36, v50 :: v_dual_mov_b32 v37, v51
	v_fma_f64 v[2:3], v[34:35], v[56:57], v[2:3]
	v_fma_f64 v[32:33], v[54:55], v[46:47], v[32:33]
	v_add_f64 v[22:23], v[46:47], v[22:23]
	v_add_f64 v[6:7], v[6:7], v[30:31]
	v_dual_mov_b32 v30, v44 :: v_dual_mov_b32 v31, v45
	s_delay_alu instid0(VALU_DEP_3) | instskip(NEXT) | instid1(VALU_DEP_1)
	v_mul_f64 v[22:23], v[22:23], v[58:59]
	v_fma_f64 v[22:23], v[32:33], v[34:35], v[22:23]
	v_dual_mov_b32 v34, v48 :: v_dual_mov_b32 v35, v49
	v_dual_mov_b32 v32, v54 :: v_dual_mov_b32 v33, v55
	s_delay_alu instid0(VALU_DEP_3)
	v_add_f64 v[4:5], v[4:5], v[22:23]
	v_lshl_add_u32 v22, v40, 2, v228
	scratch_load_b32 v40, v22, off
	v_dual_mov_b32 v22, v46 :: v_dual_mov_b32 v23, v47
	s_waitcnt vmcnt(0)
	v_cmp_gt_i32_e32 vcc_lo, 0, v40
	s_or_b32 s10, vcc_lo, s10
	s_delay_alu instid0(SALU_CYCLE_1)
	s_and_not1_b32 exec_lo, exec_lo, s10
	s_cbranch_execnz .LBB0_90
; %bb.91:
	s_or_b32 exec_lo, exec_lo, s10
	v_mov_b32_e32 v52, v91
.LBB0_92:
	s_or_b32 exec_lo, exec_lo, s9
.LBB0_93:
	s_delay_alu instid0(SALU_CYCLE_1)
	s_or_b32 exec_lo, exec_lo, s8
	s_and_saveexec_b32 s9, s0
	s_cbranch_execz .LBB0_97
; %bb.94:
	s_clause 0x7
	scratch_load_b128 v[13:16], off, off offset:240
	scratch_load_b128 v[17:20], off, off offset:256
	scratch_load_b128 v[21:24], off, off offset:272
	scratch_load_b128 v[25:28], off, off offset:288
	scratch_load_b128 v[29:32], off, off offset:304
	scratch_load_b128 v[33:36], off, off offset:320
	scratch_load_b128 v[37:40], off, off offset:336
	scratch_load_b128 v[41:44], off, off offset:352
	v_mov_b32_e32 v12, v113
	s_mov_b32 s10, 0x4ad4b81f
	s_mov_b32 s11, 0xb58dee7a
	;; [unrolled: 1-line block ×3, first 2 shown]
	s_waitcnt vmcnt(3)
	v_mov_b32_e32 v17, v30
	s_clause 0x7
	scratch_load_b128 v[18:21], off, off offset:368
	scratch_load_b128 v[22:25], off, off offset:384
	scratch_load_b128 v[26:29], off, off offset:400
	scratch_load_b128 v[30:33], off, off offset:416
	scratch_load_b128 v[34:37], off, off offset:432
	scratch_load_b128 v[38:41], off, off offset:448
	scratch_load_b128 v[42:45], off, off offset:464
	scratch_load_b128 v[46:49], off, off offset:480
	s_waitcnt vmcnt(4)
	v_mov_b32_e32 v16, v33
	s_clause 0x7
	scratch_load_b128 v[18:21], off, off offset:496
	scratch_load_b128 v[22:25], off, off offset:512
	scratch_load_b128 v[26:29], off, off offset:528
	scratch_load_b128 v[30:33], off, off offset:544
	scratch_load_b128 v[34:37], off, off offset:560
	scratch_load_b128 v[38:41], off, off offset:576
	scratch_load_b128 v[42:45], off, off offset:592
	scratch_load_b128 v[46:49], off, off offset:608
	;; [unrolled: 11-line block ×4, first 2 shown]
	s_waitcnt vmcnt(4)
	v_mov_b32_e32 v20, v32
.LBB0_95:                               ; =>This Inner Loop Header: Depth=1
	v_cmp_eq_u32_e32 vcc_lo, 1, v12
	v_cmp_eq_u32_e64 s1, 2, v12
	v_cmp_eq_u32_e64 s2, 3, v12
	;; [unrolled: 1-line block ×8, first 2 shown]
	v_lshl_add_u32 v12, v12, 2, 16
	v_dual_cndmask_b32 v13, v223, v227 :: v_dual_cndmask_b32 v14, v222, v226
	scratch_load_b32 v12, v12, off
	v_cndmask_b32_e64 v13, v13, v225, s1
	v_cndmask_b32_e64 v14, v14, v224, s1
	s_delay_alu instid0(VALU_DEP_2) | instskip(NEXT) | instid1(VALU_DEP_2)
	v_cndmask_b32_e64 v13, v13, v98, s2
	v_cndmask_b32_e64 v14, v14, v97, s2
	s_delay_alu instid0(VALU_DEP_2) | instskip(NEXT) | instid1(VALU_DEP_2)
	;; [unrolled: 3-line block ×6, first 2 shown]
	v_cndmask_b32_e64 v14, v13, v17, s7
	v_cndmask_b32_e64 v13, v15, v52, s7
	s_delay_alu instid0(VALU_DEP_1) | instskip(NEXT) | instid1(VALU_DEP_1)
	v_add_f64 v[13:14], -v[13:14], s[10:11]
	v_dual_cndmask_b32 v227, v227, v14 :: v_dual_cndmask_b32 v226, v226, v13
	v_cndmask_b32_e64 v17, v17, v14, s7
	v_cndmask_b32_e64 v52, v52, v13, s7
	;; [unrolled: 1-line block ×16, first 2 shown]
	s_waitcnt vmcnt(0)
	v_cmp_gt_i32_e32 vcc_lo, 0, v12
	s_or_b32 s12, vcc_lo, s12
	s_delay_alu instid0(SALU_CYCLE_1)
	s_and_not1_b32 exec_lo, exec_lo, s12
	s_cbranch_execnz .LBB0_95
; %bb.96:
	s_or_b32 exec_lo, exec_lo, s12
	v_cmp_eq_u32_e32 vcc_lo, 1, v113
	v_cmp_eq_u32_e64 s1, 2, v113
	v_dual_cndmask_b32 v12, v223, v227 :: v_dual_cndmask_b32 v13, v222, v226
	v_cmp_eq_u32_e32 vcc_lo, 3, v113
	s_delay_alu instid0(VALU_DEP_2) | instskip(NEXT) | instid1(VALU_DEP_3)
	v_cndmask_b32_e64 v12, v12, v225, s1
	v_cndmask_b32_e64 v13, v13, v224, s1
	s_delay_alu instid0(VALU_DEP_1) | instskip(SKIP_1) | instid1(VALU_DEP_2)
	v_dual_cndmask_b32 v12, v12, v98 :: v_dual_cndmask_b32 v13, v13, v97
	v_cmp_eq_u32_e32 vcc_lo, 4, v113
	v_dual_cndmask_b32 v12, v12, v108 :: v_dual_cndmask_b32 v13, v13, v107
	v_cmp_eq_u32_e32 vcc_lo, 5, v113
	s_delay_alu instid0(VALU_DEP_2)
	v_dual_cndmask_b32 v12, v12, v135 :: v_dual_cndmask_b32 v13, v13, v146
	v_cmp_eq_u32_e32 vcc_lo, 6, v113
	v_mov_b32_e32 v14, v18
	s_clause 0x7
	scratch_store_b128 off, v[1:4], off offset:496
	scratch_store_b128 off, v[5:8], off offset:512
	scratch_store_b128 off, v[9:12], off offset:528
	scratch_store_b128 off, v[13:16], off offset:544
	scratch_store_b128 off, v[17:20], off offset:560
	scratch_store_b128 off, v[21:24], off offset:576
	scratch_store_b128 off, v[25:28], off offset:592
	scratch_store_b128 off, v[29:32], off offset:608
	v_cndmask_b32_e32 v12, v12, v18, vcc_lo
	v_mov_b32_e32 v14, v20
	s_clause 0x7
	scratch_store_b128 off, v[2:5], off offset:752
	scratch_store_b128 off, v[6:9], off offset:768
	;; [unrolled: 1-line block ×8, first 2 shown]
	v_cndmask_b32_e32 v13, v13, v20, vcc_lo
	v_mov_b32_e32 v15, v16
	s_clause 0x7
	scratch_store_b128 off, v[0:3], off offset:368
	scratch_store_b128 off, v[4:7], off offset:384
	;; [unrolled: 1-line block ×8, first 2 shown]
	v_cmp_eq_u32_e32 vcc_lo, 7, v113
	v_mov_b32_e32 v14, v19
	v_cndmask_b32_e32 v12, v12, v16, vcc_lo
	s_clause 0x7
	scratch_store_b128 off, v[0:3], off offset:624
	scratch_store_b128 off, v[4:7], off offset:640
	;; [unrolled: 1-line block ×8, first 2 shown]
	v_cndmask_b32_e32 v14, v13, v19, vcc_lo
	v_mov_b32_e32 v18, v17
	s_clause 0x7
	scratch_store_b128 off, v[1:4], off offset:240
	scratch_store_b128 off, v[5:8], off offset:256
	scratch_store_b128 off, v[9:12], off offset:272
	scratch_store_b128 off, v[13:16], off offset:288
	scratch_store_b128 off, v[17:20], off offset:304
	scratch_store_b128 off, v[21:24], off offset:320
	scratch_store_b128 off, v[25:28], off offset:336
	scratch_store_b128 off, v[29:32], off offset:352
	v_cmp_eq_u32_e32 vcc_lo, 8, v113
	v_dual_cndmask_b32 v116, v12, v17 :: v_dual_cndmask_b32 v115, v14, v52
.LBB0_97:
	s_or_b32 exec_lo, exec_lo, s9
	v_dual_mov_b32 v0, -1 :: v_dual_mov_b32 v119, -1
	s_delay_alu instid0(VALU_DEP_2) | instskip(NEXT) | instid1(VALU_DEP_3)
	v_dual_mov_b32 v1, -1 :: v_dual_mov_b32 v118, v116
	v_dual_mov_b32 v117, v115 :: v_dual_mov_b32 v120, -1
	s_delay_alu instid0(VALU_DEP_2) | instskip(SKIP_3) | instid1(SALU_CYCLE_1)
	v_dual_mov_b32 v21, v1 :: v_dual_mov_b32 v20, v0
	s_mov_b32 s5, exec_lo
	v_mov_b32_e32 v99, v52
	s_and_b32 s1, s5, s0
	s_mov_b32 exec_lo, s1
	s_cbranch_execz .LBB0_101
; %bb.98:
	s_clause 0x7
	scratch_load_b128 v[25:28], off, off offset:240
	scratch_load_b128 v[29:32], off, off offset:256
	;; [unrolled: 1-line block ×8, first 2 shown]
	v_dual_mov_b32 v0, -1 :: v_dual_mov_b32 v21, v115
	v_dual_mov_b32 v119, -1 :: v_dual_mov_b32 v24, v113
	s_mov_b32 s6, 0
	s_waitcnt vmcnt(3)
	v_mov_b32_e32 v18, v42
	s_clause 0x7
	scratch_load_b128 v[25:28], off, off offset:368
	scratch_load_b128 v[29:32], off, off offset:384
	scratch_load_b128 v[33:36], off, off offset:400
	scratch_load_b128 v[37:40], off, off offset:416
	scratch_load_b128 v[41:44], off, off offset:432
	scratch_load_b128 v[45:48], off, off offset:448
	scratch_load_b128 v[49:52], off, off offset:464
	scratch_load_b128 v[53:56], off, off offset:480
	s_waitcnt vmcnt(4)
	v_dual_mov_b32 v20, -1 :: v_dual_mov_b32 v19, v40
	s_clause 0x7
	scratch_load_b128 v[25:28], off, off offset:496
	scratch_load_b128 v[29:32], off, off offset:512
	;; [unrolled: 1-line block ×8, first 2 shown]
	v_mov_b32_e32 v120, -1
	s_waitcnt vmcnt(4)
	v_dual_mov_b32 v30, v99 :: v_dual_mov_b32 v29, v38
	s_clause 0x7
	scratch_load_b128 v[31:34], off, off offset:624
	scratch_load_b128 v[35:38], off, off offset:640
	;; [unrolled: 1-line block ×8, first 2 shown]
	s_waitcnt vmcnt(4)
	v_dual_mov_b32 v22, v116 :: v_dual_mov_b32 v31, v45
	s_clause 0x7
	scratch_load_b128 v[32:35], off, off offset:752
	scratch_load_b128 v[36:39], off, off offset:768
	;; [unrolled: 1-line block ×8, first 2 shown]
	s_waitcnt vmcnt(4)
	v_mov_b32_e32 v12, v44
.LBB0_99:                               ; =>This Inner Loop Header: Depth=1
	s_delay_alu instid0(VALU_DEP_1)
	v_lshl_add_u32 v14, v24, 2, 16
	v_dual_mov_b32 v118, v22 :: v_dual_mov_b32 v117, v21
	scratch_load_b32 v27, v14, off
	s_waitcnt vmcnt(0)
	v_cmp_gt_i32_e32 vcc_lo, 0, v27
	v_cndmask_b32_e32 v28, v27, v113, vcc_lo
	s_delay_alu instid0(VALU_DEP_1) | instskip(SKIP_1) | instid1(VALU_DEP_2)
	v_cmp_eq_u32_e64 s1, 1, v28
	v_cmp_eq_u32_e64 s2, 2, v28
	v_cndmask_b32_e64 v14, v223, v227, s1
	v_cndmask_b32_e64 v15, v222, v226, s1
	v_cmp_eq_u32_e64 s1, 3, v28
	s_delay_alu instid0(VALU_DEP_3) | instskip(NEXT) | instid1(VALU_DEP_3)
	v_cndmask_b32_e64 v14, v14, v225, s2
	v_cndmask_b32_e64 v15, v15, v224, s2
	s_delay_alu instid0(VALU_DEP_2) | instskip(NEXT) | instid1(VALU_DEP_2)
	v_cndmask_b32_e64 v14, v14, v98, s1
	v_cndmask_b32_e64 v15, v15, v97, s1
	v_cmp_eq_u32_e64 s1, 4, v28
	s_delay_alu instid0(VALU_DEP_1) | instskip(NEXT) | instid1(VALU_DEP_3)
	v_cndmask_b32_e64 v14, v14, v108, s1
	v_cndmask_b32_e64 v15, v15, v107, s1
	v_cmp_eq_u32_e64 s1, 5, v28
	s_delay_alu instid0(VALU_DEP_1) | instskip(NEXT) | instid1(VALU_DEP_3)
	;; [unrolled: 4-line block ×5, first 2 shown]
	v_cndmask_b32_e64 v26, v14, v18, s1
	v_cndmask_b32_e64 v25, v15, v30, s1
	s_delay_alu instid0(VALU_DEP_1)
	v_cmp_gt_f64_e64 s2, 0, v[25:26]
	v_cmp_le_f64_e64 s4, 0, v[25:26]
	v_mov_b32_e32 v21, v25
	v_cmp_le_f64_e64 s1, 0, v[117:118]
	v_cmp_gt_f64_e64 s3, 0, v[117:118]
	v_mov_b32_e32 v22, v26
	s_delay_alu instid0(VALU_DEP_3) | instskip(NEXT) | instid1(VALU_DEP_2)
	s_and_b32 s1, s1, s2
	s_and_b32 s2, s3, s4
	v_cndmask_b32_e64 v20, v20, v28, s1
	v_cndmask_b32_e64 v120, v120, v28, s2
	;; [unrolled: 1-line block ×4, first 2 shown]
	v_mov_b32_e32 v24, v27
	s_or_b32 s6, vcc_lo, s6
	s_delay_alu instid0(SALU_CYCLE_1)
	s_and_not1_b32 exec_lo, exec_lo, s6
	s_cbranch_execnz .LBB0_99
; %bb.100:
	s_or_b32 exec_lo, exec_lo, s6
.LBB0_101:
	s_delay_alu instid0(SALU_CYCLE_1) | instskip(SKIP_3) | instid1(VALU_DEP_3)
	s_or_b32 exec_lo, exec_lo, s5
	v_cmp_lt_i32_e64 s1, -1, v119
	v_dual_mov_b32 v121, -1 :: v_dual_mov_b32 v30, -1
	v_mov_b32_e32 v41, -1
	s_and_saveexec_b32 s23, s1
	s_cbranch_execz .LBB0_103
; %bb.102:
	s_clause 0x7
	scratch_load_b128 v[24:27], off, off offset:496
	scratch_load_b128 v[28:31], off, off offset:512
	;; [unrolled: 1-line block ×8, first 2 shown]
	v_cmp_eq_u32_e64 s2, 1, v20
	v_cmp_eq_u32_e64 s3, 2, v20
	v_cmp_eq_u32_e64 s4, 3, v20
	v_cmp_eq_u32_e64 s5, 4, v20
	v_cmp_eq_u32_e64 s6, 5, v20
	v_cndmask_b32_e64 v22, v223, v227, s2
	v_cmp_eq_u32_e64 s9, 6, v20
	v_cmp_eq_u32_e64 s10, 7, v20
	v_cmp_eq_u32_e64 s11, 8, v20
	v_cndmask_b32_e64 v20, v222, v226, s2
	v_cndmask_b32_e64 v22, v22, v225, s3
	v_cmp_eq_u32_e64 s12, 1, v119
	v_cmp_eq_u32_e64 s13, 2, v119
	v_cmp_eq_u32_e64 s14, 3, v119
	v_cndmask_b32_e64 v20, v20, v224, s3
	;; [unrolled: 5-line block ×5, first 2 shown]
	v_cmp_eq_u32_e64 s7, 4, v114
	s_waitcnt vmcnt(4)
	v_mov_b32_e32 v91, v37
	s_clause 0x7
	scratch_load_b128 v[24:27], off, off offset:368
	scratch_load_b128 v[28:31], off, off offset:384
	;; [unrolled: 1-line block ×8, first 2 shown]
	s_waitcnt vmcnt(4)
	v_mov_b32_e32 v102, v39
	s_clause 0x7
	scratch_load_b128 v[24:27], off, off offset:752
	scratch_load_b128 v[28:31], off, off offset:768
	;; [unrolled: 1-line block ×8, first 2 shown]
	v_cndmask_b32_e64 v22, v22, v91, s9
	s_delay_alu instid0(VALU_DEP_1)
	v_cndmask_b32_e64 v22, v22, v102, s10
	s_waitcnt vmcnt(4)
	v_mov_b32_e32 v101, v36
	s_clause 0x7
	scratch_load_b128 v[24:27], off, off offset:624
	scratch_load_b128 v[28:31], off, off offset:640
	;; [unrolled: 1-line block ×8, first 2 shown]
	s_waitcnt vmcnt(4)
	v_mov_b32_e32 v100, v38
	s_clause 0x7
	scratch_load_b128 v[24:27], off, off offset:240
	scratch_load_b128 v[28:31], off, off offset:256
	scratch_load_b128 v[32:35], off, off offset:272
	scratch_load_b128 v[36:39], off, off offset:288
	scratch_load_b128 v[40:43], off, off offset:304
	scratch_load_b128 v[44:47], off, off offset:320
	scratch_load_b128 v[48:51], off, off offset:336
	scratch_load_b128 v[52:55], off, off offset:352
	v_cndmask_b32_e64 v20, v20, v101, s9
	s_delay_alu instid0(VALU_DEP_1) | instskip(NEXT) | instid1(VALU_DEP_1)
	v_cndmask_b32_e64 v20, v20, v100, s10
	v_cndmask_b32_e64 v79, v20, v99, s11
	;; [unrolled: 1-line block ×3, first 2 shown]
	s_delay_alu instid0(VALU_DEP_1) | instskip(NEXT) | instid1(VALU_DEP_1)
	v_cndmask_b32_e64 v20, v20, v225, s13
	v_cndmask_b32_e64 v20, v20, v98, s14
	s_delay_alu instid0(VALU_DEP_1) | instskip(NEXT) | instid1(VALU_DEP_1)
	v_cndmask_b32_e64 v20, v20, v108, s15
	v_cndmask_b32_e64 v20, v20, v135, s16
	;; [unrolled: 3-line block ×3, first 2 shown]
	s_waitcnt vmcnt(3)
	v_mov_b32_e32 v103, v41
	s_delay_alu instid0(VALU_DEP_1) | instskip(SKIP_3) | instid1(VALU_DEP_4)
	v_cndmask_b32_e64 v80, v22, v103, s11
	v_cndmask_b32_e64 v22, v222, v226, s12
	;; [unrolled: 1-line block ×4, first 2 shown]
	v_add_f64 v[24:25], -v[79:80], 0
	s_delay_alu instid0(VALU_DEP_4) | instskip(NEXT) | instid1(VALU_DEP_3)
	v_cndmask_b32_e64 v22, v22, v224, s13
	v_cndmask_b32_e64 v20, v20, v250, s13
	s_delay_alu instid0(VALU_DEP_2) | instskip(NEXT) | instid1(VALU_DEP_2)
	v_cndmask_b32_e64 v22, v22, v97, s14
	v_cndmask_b32_e64 v20, v20, v193, s14
	s_delay_alu instid0(VALU_DEP_2) | instskip(NEXT) | instid1(VALU_DEP_2)
	v_cndmask_b32_e64 v22, v22, v107, s15
	v_cndmask_b32_e64 v20, v20, v126, s15
	s_delay_alu instid0(VALU_DEP_2) | instskip(NEXT) | instid1(VALU_DEP_1)
	v_cndmask_b32_e64 v22, v22, v146, s16
	v_cndmask_b32_e64 v22, v22, v101, s17
	s_delay_alu instid0(VALU_DEP_1) | instskip(NEXT) | instid1(VALU_DEP_1)
	v_cndmask_b32_e64 v22, v22, v100, s18
	v_cndmask_b32_e64 v81, v22, v99, s19
	;; [unrolled: 1-line block ×3, first 2 shown]
	s_delay_alu instid0(VALU_DEP_2) | instskip(NEXT) | instid1(VALU_DEP_2)
	v_add_f64 v[26:27], v[81:82], -v[79:80]
	v_cndmask_b32_e64 v22, v22, v249, s13
	s_delay_alu instid0(VALU_DEP_1) | instskip(NEXT) | instid1(VALU_DEP_1)
	v_cndmask_b32_e64 v22, v22, v192, s14
	v_cndmask_b32_e64 v22, v22, v125, s15
	s_delay_alu instid0(VALU_DEP_4) | instskip(NEXT) | instid1(VALU_DEP_1)
	v_div_scale_f64 v[28:29], null, v[26:27], v[26:27], v[24:25]
	v_rcp_f64_e32 v[30:31], v[28:29]
	s_waitcnt_depctr 0xfff
	v_fma_f64 v[32:33], -v[28:29], v[30:31], 1.0
	s_delay_alu instid0(VALU_DEP_1) | instskip(NEXT) | instid1(VALU_DEP_1)
	v_fma_f64 v[30:31], v[30:31], v[32:33], v[30:31]
	v_fma_f64 v[32:33], -v[28:29], v[30:31], 1.0
	s_delay_alu instid0(VALU_DEP_1) | instskip(SKIP_1) | instid1(VALU_DEP_1)
	v_fma_f64 v[30:31], v[30:31], v[32:33], v[30:31]
	v_div_scale_f64 v[32:33], vcc_lo, v[24:25], v[26:27], v[24:25]
	v_mul_f64 v[34:35], v[32:33], v[30:31]
	s_delay_alu instid0(VALU_DEP_1) | instskip(NEXT) | instid1(VALU_DEP_1)
	v_fma_f64 v[28:29], -v[28:29], v[34:35], v[32:33]
	v_div_fmas_f64 v[28:29], v[28:29], v[30:31], v[34:35]
	v_cmp_eq_u32_e32 vcc_lo, 8, v114
	s_delay_alu instid0(VALU_DEP_2)
	v_div_fixup_f64 v[83:84], v[28:29], v[26:27], v[24:25]
	s_clause 0x7
	scratch_load_b128 v[24:27], off, off offset:2160
	scratch_load_b128 v[28:31], off, off offset:2176
	;; [unrolled: 1-line block ×8, first 2 shown]
	v_add_f64 v[85:86], -v[83:84], 1.0
	s_waitcnt vmcnt(5)
	v_mov_b32_e32 v12, v35
	s_clause 0x7
	scratch_load_b128 v[23:26], off, off offset:2672
	scratch_load_b128 v[27:30], off, off offset:2688
	;; [unrolled: 1-line block ×8, first 2 shown]
	v_cndmask_b32_e64 v20, v20, v12, s16
	s_waitcnt vmcnt(5)
	v_mov_b32_e32 v77, v33
	s_clause 0x7
	scratch_load_b128 v[24:27], off, off offset:2032
	scratch_load_b128 v[28:31], off, off offset:2048
	;; [unrolled: 1-line block ×8, first 2 shown]
	s_waitcnt vmcnt(4)
	v_mov_b32_e32 v75, v37
	s_clause 0xf
	scratch_load_b128 v[23:26], off, off offset:2544
	scratch_load_b128 v[27:30], off, off offset:2560
	scratch_load_b128 v[31:34], off, off offset:2576
	scratch_load_b128 v[35:38], off, off offset:2592
	scratch_load_b128 v[39:42], off, off offset:2608
	scratch_load_b128 v[43:46], off, off offset:2624
	scratch_load_b128 v[47:50], off, off offset:2640
	scratch_load_b128 v[51:54], off, off offset:2656
	scratch_load_b128 v[41:44], off, off offset:1904
	scratch_load_b128 v[45:48], off, off offset:1920
	scratch_load_b128 v[49:52], off, off offset:1936
	scratch_load_b128 v[53:56], off, off offset:1952
	scratch_load_b128 v[57:60], off, off offset:1968
	scratch_load_b128 v[61:64], off, off offset:1984
	scratch_load_b128 v[65:68], off, off offset:2000
	scratch_load_b128 v[69:72], off, off offset:2016
	v_cndmask_b32_e64 v20, v20, v75, s17
	s_waitcnt vmcnt(12)
	v_mov_b32_e32 v76, v35
	s_clause 0x7
	scratch_load_b128 v[23:26], off, off offset:2416
	scratch_load_b128 v[27:30], off, off offset:2432
	;; [unrolled: 1-line block ×8, first 2 shown]
	v_cndmask_b32_e64 v22, v22, v77, s16
	s_waitcnt vmcnt(12)
	v_cndmask_b32_e64 v20, v20, v56, s18
	s_delay_alu instid0(VALU_DEP_2)
	v_cndmask_b32_e64 v22, v22, v76, s17
	s_waitcnt vmcnt(4)
	v_mov_b32_e32 v57, v37
	s_clause 0x7
	scratch_load_b128 v[24:27], off, off offset:112
	scratch_load_b128 v[28:31], off, off offset:128
	;; [unrolled: 1-line block ×8, first 2 shown]
	v_cndmask_b32_e64 v1, v22, v57, s18
	s_waitcnt vmcnt(2)
	v_mov_b32_e32 v45, v41
	s_delay_alu instid0(VALU_DEP_1)
	v_cndmask_b32_e64 v9, v20, v45, s19
	s_clause 0x7
	scratch_load_b128 v[13:16], off, off offset:2288
	scratch_load_b128 v[17:20], off, off offset:2304
	;; [unrolled: 1-line block ×8, first 2 shown]
	s_waitcnt vmcnt(6)
	v_cndmask_b32_e64 v20, v242, v246, s2
	s_waitcnt vmcnt(5)
	v_cndmask_b32_e64 v22, v241, v245, s2
	s_waitcnt vmcnt(3)
	v_cndmask_b32_e64 v30, v244, v240, s2
	v_cndmask_b32_e64 v31, v243, v239, s2
	s_waitcnt vmcnt(2)
	v_cndmask_b32_e64 v33, v243, v239, s12
	v_cndmask_b32_e64 v20, v20, v250, s3
	;; [unrolled: 1-line block ×8, first 2 shown]
	s_delay_alu instid0(VALU_DEP_2) | instskip(NEXT) | instid1(VALU_DEP_2)
	v_cndmask_b32_e64 v20, v20, v126, s5
	v_cndmask_b32_e64 v22, v22, v125, s5
	s_delay_alu instid0(VALU_DEP_2) | instskip(NEXT) | instid1(VALU_DEP_2)
	v_cndmask_b32_e64 v20, v20, v12, s6
	v_cndmask_b32_e64 v22, v22, v77, s6
	;; [unrolled: 3-line block ×5, first 2 shown]
	v_cndmask_b32_e64 v8, v1, v29, s19
	s_delay_alu instid0(VALU_DEP_2) | instskip(NEXT) | instid1(VALU_DEP_1)
	v_mul_f64 v[26:27], v[26:27], v[85:86]
	v_fma_f64 v[73:74], v[8:9], v[83:84], v[26:27]
	s_delay_alu instid0(VALU_DEP_1) | instskip(SKIP_1) | instid1(VALU_DEP_3)
	v_cndmask_b32_e32 v20, v29, v73, vcc_lo
	v_cndmask_b32_e64 v22, v57, v73, s20
	v_cndmask_b32_e32 v29, v45, v74, vcc_lo
	v_cndmask_b32_e64 v28, v56, v74, s20
	s_waitcnt vmcnt(1)
	v_cndmask_b32_e64 v39, v192, v73, s8
	v_cndmask_b32_e64 v94, v193, v74, s8
	s_clause 0xf
	scratch_load_b128 v[41:44], off, off offset:880
	scratch_load_b128 v[45:48], off, off offset:896
	scratch_load_b128 v[49:52], off, off offset:912
	scratch_load_b128 v[53:56], off, off offset:928
	scratch_load_b128 v[57:60], off, off offset:944
	scratch_load_b128 v[61:64], off, off offset:960
	scratch_load_b128 v[65:68], off, off offset:976
	scratch_load_b128 v[69:72], off, off offset:992
	scratch_load_b128 v[186:189], off, off offset:1264
	scratch_load_b128 v[190:193], off, off offset:1280
	scratch_load_b128 v[194:197], off, off offset:1296
	scratch_load_b128 v[198:201], off, off offset:1312
	scratch_load_b128 v[202:205], off, off offset:1328
	scratch_load_b128 v[206:209], off, off offset:1344
	scratch_load_b128 v[210:213], off, off offset:1360
	scratch_load_b128 v[214:217], off, off offset:1376
	v_cndmask_b32_e64 v26, v12, v74, s22
	s_waitcnt vmcnt(11)
	v_mul_f64 v[58:59], v[79:80], v[85:86]
	v_cndmask_b32_e64 v24, v76, v73, s21
	v_cndmask_b32_e64 v49, v220, v218, s12
	;; [unrolled: 1-line block ×5, first 2 shown]
	s_delay_alu instid0(VALU_DEP_4) | instskip(NEXT) | instid1(VALU_DEP_1)
	v_cndmask_b32_e64 v49, v49, v252, s13
	v_cndmask_b32_e64 v49, v49, v174, s14
	s_delay_alu instid0(VALU_DEP_1) | instskip(NEXT) | instid1(VALU_DEP_1)
	v_cndmask_b32_e64 v49, v49, v184, s15
	v_cndmask_b32_e64 v49, v49, v96, s16
	s_delay_alu instid0(VALU_DEP_1) | instskip(NEXT) | instid1(VALU_DEP_1)
	v_cndmask_b32_e64 v49, v49, v95, s17
	v_cndmask_b32_e64 v49, v49, v92, s18
	s_waitcnt vmcnt(8)
	v_fma_f64 v[70:71], v[81:82], v[83:84], v[58:59]
	s_delay_alu instid0(VALU_DEP_1) | instskip(SKIP_1) | instid1(VALU_DEP_3)
	v_cndmask_b32_e64 v59, v100, v70, s20
	v_cndmask_b32_e64 v58, v101, v70, s21
	;; [unrolled: 1-line block ×7, first 2 shown]
	v_cndmask_b32_e32 v60, v99, v70, vcc_lo
	v_cndmask_b32_e64 v30, v30, v48, s4
	s_waitcnt vmcnt(5)
	v_mov_b32_e32 v12, v197
	s_clause 0x7
	scratch_load_b128 v[186:189], off, off offset:1776
	scratch_load_b128 v[190:193], off, off offset:1792
	;; [unrolled: 1-line block ×8, first 2 shown]
	v_cndmask_b32_e64 v31, v31, v47, s4
	v_cndmask_b32_e64 v33, v33, v47, s14
	;; [unrolled: 1-line block ×3, first 2 shown]
	s_delay_alu instid0(VALU_DEP_3) | instskip(NEXT) | instid1(VALU_DEP_3)
	v_cndmask_b32_e64 v31, v31, v111, s5
	v_cndmask_b32_e64 v33, v33, v111, s15
	s_waitcnt vmcnt(5)
	v_mov_b32_e32 v42, v196
	s_clause 0x7
	scratch_load_b128 v[186:189], off, off offset:1136
	scratch_load_b128 v[190:193], off, off offset:1152
	;; [unrolled: 1-line block ×8, first 2 shown]
	v_cndmask_b32_e64 v27, v75, v74, s21
	v_cndmask_b32_e64 v31, v31, v42, s6
	;; [unrolled: 1-line block ×3, first 2 shown]
	s_waitcnt vmcnt(4)
	v_mov_b32_e32 v13, v199
	s_clause 0x7
	scratch_load_b128 v[186:189], off, off offset:1648
	scratch_load_b128 v[190:193], off, off offset:1664
	;; [unrolled: 1-line block ×8, first 2 shown]
	s_waitcnt vmcnt(4)
	v_mov_b32_e32 v41, v198
	s_clause 0x7
	scratch_load_b128 v[186:189], off, off offset:1008
	scratch_load_b128 v[190:193], off, off offset:1024
	;; [unrolled: 1-line block ×8, first 2 shown]
	v_cndmask_b32_e64 v30, v30, v12, s6
	v_cndmask_b32_e64 v31, v31, v41, s9
	v_cndmask_b32_e64 v33, v33, v41, s17
	s_delay_alu instid0(VALU_DEP_3)
	v_cndmask_b32_e64 v30, v30, v13, s9
	s_waitcnt vmcnt(4)
	v_mov_b32_e32 v36, v201
	s_clause 0x7
	scratch_load_b128 v[186:189], off, off offset:1520
	scratch_load_b128 v[190:193], off, off offset:1536
	;; [unrolled: 1-line block ×8, first 2 shown]
	s_waitcnt vmcnt(4)
	v_mov_b32_e32 v40, v200
	s_clause 0x7
	scratch_load_b128 v[186:189], off, off offset:2800
	scratch_load_b128 v[190:193], off, off offset:2816
	;; [unrolled: 1-line block ×8, first 2 shown]
	v_cndmask_b32_e64 v32, v31, v40, s10
	v_cndmask_b32_e64 v34, v33, v40, s18
	s_waitcnt vmcnt(3)
	v_mov_b32_e32 v35, v203
	s_clause 0x7
	scratch_load_b128 v[186:189], off, off offset:1392
	scratch_load_b128 v[190:193], off, off offset:1408
	;; [unrolled: 1-line block ×8, first 2 shown]
	v_cndmask_b32_e64 v30, v30, v36, s10
	s_delay_alu instid0(VALU_DEP_1)
	v_cndmask_b32_e64 v31, v30, v35, s11
	s_waitcnt vmcnt(3)
	v_mov_b32_e32 v37, v202
	s_clause 0x7
	scratch_load_b128 v[186:189], off, off offset:2928
	scratch_load_b128 v[190:193], off, off offset:2944
	;; [unrolled: 1-line block ×8, first 2 shown]
	v_cndmask_b32_e64 v30, v32, v37, s11
	v_cndmask_b32_e64 v32, v244, v240, s12
	s_delay_alu instid0(VALU_DEP_2) | instskip(NEXT) | instid1(VALU_DEP_2)
	v_mul_f64 v[30:31], v[30:31], v[85:86]
	v_cndmask_b32_e64 v32, v32, v238, s13
	s_delay_alu instid0(VALU_DEP_1) | instskip(NEXT) | instid1(VALU_DEP_1)
	v_cndmask_b32_e64 v32, v32, v48, s14
	v_cndmask_b32_e64 v32, v32, v112, s15
	s_delay_alu instid0(VALU_DEP_1) | instskip(NEXT) | instid1(VALU_DEP_1)
	v_cndmask_b32_e64 v32, v32, v12, s16
	;; [unrolled: 3-line block ×3, first 2 shown]
	v_cndmask_b32_e64 v33, v32, v35, s19
	v_cndmask_b32_e64 v32, v34, v37, s19
	s_delay_alu instid0(VALU_DEP_1) | instskip(SKIP_1) | instid1(VALU_DEP_1)
	v_fma_f64 v[75:76], v[32:33], v[83:84], v[30:31]
	v_cndmask_b32_e64 v30, v221, v219, s2
	v_cndmask_b32_e64 v30, v30, v253, s3
	s_delay_alu instid0(VALU_DEP_1) | instskip(NEXT) | instid1(VALU_DEP_1)
	v_cndmask_b32_e64 v30, v30, v175, s4
	v_cndmask_b32_e64 v30, v30, v185, s5
	s_delay_alu instid0(VALU_DEP_1) | instskip(NEXT) | instid1(VALU_DEP_1)
	v_cndmask_b32_e64 v30, v30, v90, s6
	v_cndmask_b32_e64 v30, v30, v89, s9
	s_delay_alu instid0(VALU_DEP_1)
	v_cndmask_b32_e64 v30, v30, v88, s10
	v_cndmask_b32_e64 v62, v47, v75, s8
	;; [unrolled: 1-line block ×10, first 2 shown]
	v_cndmask_b32_e32 v40, v35, v76, vcc_lo
	v_cndmask_b32_e64 v30, v30, v253, s13
	v_cndmask_b32_e64 v47, v47, v174, s4
	;; [unrolled: 1-line block ×3, first 2 shown]
	v_cmp_eq_u32_e64 s12, 5, v0
	v_cmp_eq_u32_e64 s3, 5, v120
	v_cndmask_b32_e64 v30, v30, v175, s14
	v_cndmask_b32_e64 v47, v47, v184, s5
	v_cmp_eq_u32_e64 s14, 4, v0
	v_cmp_eq_u32_e64 s2, 6, v120
	v_cmp_eq_u32_e64 s13, 7, v0
	v_cndmask_b32_e64 v30, v30, v185, s15
	v_cndmask_b32_e64 v47, v47, v96, s6
	v_cmp_eq_u32_e64 s6, 4, v120
	;; [unrolled: 5-line block ×4, first 2 shown]
	v_cmp_eq_u32_e64 s17, 2, v120
	v_cndmask_b32_e64 v61, v111, v75, s7
	v_cndmask_b32_e64 v30, v30, v88, s18
	v_cmp_eq_u32_e64 s18, 3, v0
	v_cndmask_b32_e64 v63, v112, v76, s7
	s_delay_alu instid0(VALU_DEP_3) | instskip(SKIP_4) | instid1(VALU_DEP_1)
	v_cndmask_b32_e64 v50, v30, v87, s19
	v_lshl_add_u32 v30, v114, 2, 16
	scratch_load_b32 v30, v30, off
	s_waitcnt vmcnt(4)
	v_mov_b32_e32 v41, v202
	v_cndmask_b32_e64 v47, v47, v41, s11
	v_cndmask_b32_e64 v49, v49, v41, s19
	v_cmp_eq_u32_e64 s19, 1, v120
	v_cmp_eq_u32_e64 s11, 2, v0
	s_delay_alu instid0(VALU_DEP_4) | instskip(NEXT) | instid1(VALU_DEP_1)
	v_mul_f64 v[47:48], v[47:48], v[85:86]
	v_fma_f64 v[77:78], v[49:50], v[83:84], v[47:48]
	s_delay_alu instid0(VALU_DEP_1) | instskip(NEXT) | instid1(VALU_DEP_2)
	v_cndmask_b32_e32 v50, v41, v77, vcc_lo
	v_dual_cndmask_b32 v34, v37, v75 :: v_dual_cndmask_b32 v57, v87, v78
	v_cndmask_b32_e64 v37, v36, v76, s20
	v_cndmask_b32_e64 v36, v13, v76, s21
	;; [unrolled: 1-line block ×6, first 2 shown]
	v_cmp_eq_u32_e64 s20, 1, v114
	v_cmp_eq_u32_e64 s21, 0, v114
	v_cndmask_b32_e64 v47, v96, v77, s22
	v_cndmask_b32_e64 v51, v90, v78, s22
	v_cmp_eq_u32_e64 s22, 2, v114
	v_cndmask_b32_e64 v41, v226, v70, s20
	v_cndmask_b32_e64 v44, v227, v71, s20
	;; [unrolled: 1-line block ×26, first 2 shown]
	v_cndmask_b32_e32 v69, v103, v71, vcc_lo
	v_cndmask_b32_e64 v42, v42, v65, s12
	v_cndmask_b32_e64 v43, v43, v56, s12
	;; [unrolled: 1-line block ×19, first 2 shown]
	s_waitcnt vmcnt(0)
	v_lshl_add_u32 v16, v30, 2, 16
	v_cndmask_b32_e64 v1, v92, v91, s19
	v_add_f64 v[70:71], -v[42:43], 0
	v_cndmask_b32_e64 v9, v92, v91, s10
	v_add_f64 v[72:73], v[52:53], -v[42:43]
	scratch_load_b32 v16, v16, off
	v_cndmask_b32_e64 v110, v1, v90, s17
	v_cndmask_b32_e64 v99, v244, v76, s21
	;; [unrolled: 1-line block ×14, first 2 shown]
	s_delay_alu instid0(VALU_DEP_4) | instskip(NEXT) | instid1(VALU_DEP_1)
	v_cndmask_b32_e64 v9, v9, v38, s14
	v_cndmask_b32_e64 v9, v9, v25, s12
	s_delay_alu instid0(VALU_DEP_1) | instskip(SKIP_2) | instid1(VALU_DEP_2)
	v_cndmask_b32_e64 v9, v9, v24, s15
	v_div_scale_f64 v[79:80], null, v[72:73], v[72:73], v[70:71]
	v_div_scale_f64 v[85:86], vcc_lo, v[70:71], v[72:73], v[70:71]
	v_rcp_f64_e32 v[81:82], v[79:80]
	s_waitcnt_depctr 0xfff
	v_fma_f64 v[83:84], -v[79:80], v[81:82], 1.0
	s_delay_alu instid0(VALU_DEP_1) | instskip(NEXT) | instid1(VALU_DEP_1)
	v_fma_f64 v[81:82], v[81:82], v[83:84], v[81:82]
	v_fma_f64 v[83:84], -v[79:80], v[81:82], 1.0
	s_delay_alu instid0(VALU_DEP_1) | instskip(NEXT) | instid1(VALU_DEP_1)
	v_fma_f64 v[81:82], v[81:82], v[83:84], v[81:82]
	v_mul_f64 v[83:84], v[85:86], v[81:82]
	s_delay_alu instid0(VALU_DEP_1) | instskip(SKIP_3) | instid1(VALU_DEP_3)
	v_fma_f64 v[79:80], -v[79:80], v[83:84], v[85:86]
	v_cndmask_b32_e64 v86, v240, v76, s20
	v_cndmask_b32_e64 v85, v238, v76, s22
	;; [unrolled: 1-line block ×4, first 2 shown]
	s_delay_alu instid0(VALU_DEP_1)
	v_cndmask_b32_e64 v18, v18, v85, s17
	s_waitcnt vmcnt(0)
	scratch_store_b32 off, v16, off offset:108
	v_div_fmas_f64 v[79:80], v[79:80], v[81:82], v[83:84]
	v_cndmask_b32_e64 v81, v242, v74, s21
	v_cndmask_b32_e64 v83, v239, v75, s20
	;; [unrolled: 1-line block ×5, first 2 shown]
	v_cmp_eq_u32_e32 vcc_lo, 3, v30
	s_delay_alu instid0(VALU_DEP_4) | instskip(NEXT) | instid1(VALU_DEP_1)
	v_cndmask_b32_e64 v19, v84, v83, s19
	v_cndmask_b32_e64 v111, v19, v82, s17
	s_delay_alu instid0(VALU_DEP_1)
	v_cndmask_b32_e64 v111, v111, v62, s9
	v_div_fixup_f64 v[70:71], v[79:80], v[72:73], v[70:71]
	v_cndmask_b32_e64 v80, v246, v74, s20
	v_cndmask_b32_e64 v79, v250, v74, s22
	;; [unrolled: 1-line block ×37, first 2 shown]
	v_add_f64 v[0:1], -v[70:71], 1.0
	v_cndmask_b32_e64 v19, v19, v37, s13
	v_cndmask_b32_e64 v72, v72, v33, s13
	;; [unrolled: 1-line block ×30, first 2 shown]
	s_delay_alu instid0(VALU_DEP_4) | instskip(NEXT) | instid1(VALU_DEP_1)
	v_cndmask_b32_e64 v109, v109, v32, s2
	v_cndmask_b32_e64 v109, v109, v33, s4
	v_mul_f64 v[8:9], v[8:9], v[0:1]
	v_mul_f64 v[18:19], v[18:19], v[0:1]
	;; [unrolled: 1-line block ×4, first 2 shown]
	v_cndmask_b32_e64 v43, v76, v29, s5
	v_cndmask_b32_e64 v42, v77, v20, s5
	;; [unrolled: 1-line block ×5, first 2 shown]
	v_cmp_eq_u32_e64 s3, 2, v30
	v_fma_f64 v[74:75], v[42:43], v[70:71], v[8:9]
	v_cndmask_b32_e64 v42, v76, v54, s2
	v_cndmask_b32_e64 v43, v77, v48, s2
	;; [unrolled: 1-line block ×4, first 2 shown]
	v_cmp_eq_u32_e64 s2, 4, v30
	v_cndmask_b32_e64 v42, v42, v55, s4
	v_cndmask_b32_e64 v43, v43, v49, s4
	v_cmp_eq_u32_e64 s4, 1, v30
	v_fma_f64 v[76:77], v[8:9], v[70:71], v[18:19]
	s_delay_alu instid0(VALU_DEP_4) | instskip(NEXT) | instid1(VALU_DEP_4)
	v_cndmask_b32_e64 v9, v42, v57, s5
	v_cndmask_b32_e64 v8, v43, v50, s5
	v_cmp_eq_u32_e64 s5, 0, v30
	s_delay_alu instid0(VALU_DEP_2)
	v_fma_f64 v[72:73], v[8:9], v[70:71], v[72:73]
	v_fma_f64 v[70:71], v[52:53], v[70:71], v[0:1]
	v_dual_cndmask_b32 v193, v94, v75 :: v_dual_cndmask_b32 v192, v39, v74
	v_cndmask_b32_e64 v126, v93, v75, s2
	v_cndmask_b32_e64 v125, v38, v74, s2
	;; [unrolled: 1-line block ×7, first 2 shown]
	v_dual_cndmask_b32 v9, v64, v77 :: v_dual_cndmask_b32 v8, v62, v76
	v_cndmask_b32_e64 v112, v63, v77, s2
	v_cndmask_b32_e64 v111, v61, v76, s2
	;; [unrolled: 1-line block ×6, first 2 shown]
	v_cndmask_b32_e32 v174, v101, v72, vcc_lo
	v_cndmask_b32_e32 v98, v89, v71, vcc_lo
	s_clause 0x7
	scratch_store_b128 off, v[2:5], off offset:880
	scratch_store_b128 off, v[6:9], off offset:896
	;; [unrolled: 1-line block ×8, first 2 shown]
	v_cndmask_b32_e32 v175, v106, v73, vcc_lo
	v_cndmask_b32_e32 v97, v88, v70, vcc_lo
	v_cndmask_b32_e64 v185, v105, v73, s2
	v_cndmask_b32_e64 v184, v100, v72, s2
	;; [unrolled: 1-line block ×19, first 2 shown]
	v_cmp_eq_u32_e32 vcc_lo, 8, v30
	v_cmp_eq_u32_e64 s2, 7, v30
	v_cmp_eq_u32_e64 s3, 6, v30
	;; [unrolled: 1-line block ×3, first 2 shown]
	v_cndmask_b32_e32 v18, v29, v75, vcc_lo
	s_clause 0x7
	scratch_store_b128 off, v[1:4], off offset:112
	scratch_store_b128 off, v[5:8], off offset:128
	;; [unrolled: 1-line block ×8, first 2 shown]
	v_mov_b32_e32 v41, v114
	v_cndmask_b32_e32 v87, v57, v73, vcc_lo
	v_cndmask_b32_e64 v88, v55, v73, s2
	v_cndmask_b32_e64 v92, v49, v72, s2
	;; [unrolled: 1-line block ×8, first 2 shown]
	v_cndmask_b32_e32 v99, v60, v70, vcc_lo
	v_cndmask_b32_e32 v16, v20, v74, vcc_lo
	s_clause 0x7
	scratch_store_b128 off, v[0:3], off offset:2288
	scratch_store_b128 off, v[4:7], off offset:2304
	scratch_store_b128 off, v[8:11], off offset:2320
	scratch_store_b128 off, v[12:15], off offset:2336
	scratch_store_b128 off, v[16:19], off offset:2352
	scratch_store_b128 off, v[20:23], off offset:2368
	scratch_store_b128 off, v[24:27], off offset:2384
	scratch_store_b128 off, v[28:31], off offset:2400
	v_cndmask_b32_e64 v16, v28, v75, s2
	s_clause 0x7
	scratch_store_b128 off, v[1:4], off offset:1904
	scratch_store_b128 off, v[5:8], off offset:1920
	scratch_store_b128 off, v[9:12], off offset:1936
	scratch_store_b128 off, v[13:16], off offset:1952
	scratch_store_b128 off, v[17:20], off offset:1968
	scratch_store_b128 off, v[21:24], off offset:1984
	scratch_store_b128 off, v[25:28], off offset:2000
	scratch_store_b128 off, v[29:32], off offset:2016
	v_cndmask_b32_e64 v14, v22, v74, s2
	;; [unrolled: 10-line block ×6, first 2 shown]
	s_clause 0x7
	scratch_store_b128 off, v[2:5], off offset:2672
	scratch_store_b128 off, v[6:9], off offset:2688
	;; [unrolled: 1-line block ×8, first 2 shown]
	v_cndmask_b32_e32 v18, v40, v77, vcc_lo
	s_clause 0x7
	scratch_store_b128 off, v[1:4], off offset:2800
	scratch_store_b128 off, v[5:8], off offset:2816
	;; [unrolled: 1-line block ×8, first 2 shown]
	v_cndmask_b32_e32 v16, v34, v76, vcc_lo
	s_clause 0x7
	scratch_store_b128 off, v[0:3], off offset:1392
	scratch_store_b128 off, v[4:7], off offset:1408
	scratch_store_b128 off, v[8:11], off offset:1424
	scratch_store_b128 off, v[12:15], off offset:1440
	scratch_store_b128 off, v[16:19], off offset:1456
	scratch_store_b128 off, v[20:23], off offset:1472
	scratch_store_b128 off, v[24:27], off offset:1488
	scratch_store_b128 off, v[28:31], off offset:1504
	v_cndmask_b32_e64 v16, v37, v77, s2
	s_clause 0x7
	scratch_store_b128 off, v[1:4], off offset:1008
	scratch_store_b128 off, v[5:8], off offset:1024
	scratch_store_b128 off, v[9:12], off offset:1040
	scratch_store_b128 off, v[13:16], off offset:1056
	scratch_store_b128 off, v[17:20], off offset:1072
	scratch_store_b128 off, v[21:24], off offset:1088
	scratch_store_b128 off, v[25:28], off offset:1104
	scratch_store_b128 off, v[29:32], off offset:1120
	v_cndmask_b32_e64 v16, v33, v76, s2
	s_clause 0x7
	scratch_store_b128 off, v[2:5], off offset:1520
	scratch_store_b128 off, v[6:9], off offset:1536
	scratch_store_b128 off, v[10:13], off offset:1552
	scratch_store_b128 off, v[14:17], off offset:1568
	scratch_store_b128 off, v[18:21], off offset:1584
	scratch_store_b128 off, v[22:25], off offset:1600
	scratch_store_b128 off, v[26:29], off offset:1616
	scratch_store_b128 off, v[30:33], off offset:1632
	v_cndmask_b32_e64 v13, v36, v77, s3
	s_clause 0x7
	scratch_store_b128 off, v[0:3], off offset:1136
	scratch_store_b128 off, v[4:7], off offset:1152
	scratch_store_b128 off, v[8:11], off offset:1168
	scratch_store_b128 off, v[12:15], off offset:1184
	scratch_store_b128 off, v[16:19], off offset:1200
	scratch_store_b128 off, v[20:23], off offset:1216
	scratch_store_b128 off, v[24:27], off offset:1232
	scratch_store_b128 off, v[28:31], off offset:1248
	v_cndmask_b32_e64 v12, v32, v76, s3
	s_clause 0x7
	scratch_store_b128 off, v[0:3], off offset:1648
	scratch_store_b128 off, v[4:7], off offset:1664
	scratch_store_b128 off, v[8:11], off offset:1680
	scratch_store_b128 off, v[12:15], off offset:1696
	scratch_store_b128 off, v[16:19], off offset:1712
	scratch_store_b128 off, v[20:23], off offset:1728
	scratch_store_b128 off, v[24:27], off offset:1744
	scratch_store_b128 off, v[28:31], off offset:1760
	v_cndmask_b32_e64 v12, v35, v77, s4
	s_clause 0x7
	scratch_store_b128 off, v[1:4], off offset:1264
	scratch_store_b128 off, v[5:8], off offset:1280
	scratch_store_b128 off, v[9:12], off offset:1296
	scratch_store_b128 off, v[13:16], off offset:1312
	scratch_store_b128 off, v[17:20], off offset:1328
	scratch_store_b128 off, v[21:24], off offset:1344
	scratch_store_b128 off, v[25:28], off offset:1360
	scratch_store_b128 off, v[29:32], off offset:1376
	v_cndmask_b32_e64 v12, v31, v76, s4
	s_clause 0x7
	scratch_store_b128 off, v[2:5], off offset:1776
	scratch_store_b128 off, v[6:9], off offset:1792
	;; [unrolled: 1-line block ×8, first 2 shown]
	v_cndmask_b32_e32 v16, v50, v72, vcc_lo
	s_clause 0x7
	scratch_store_b128 off, v[0:3], off offset:2928
	scratch_store_b128 off, v[4:7], off offset:2944
	;; [unrolled: 1-line block ×8, first 2 shown]
	v_cndmask_b32_e32 v18, v69, v71, vcc_lo
	s_clause 0x7
	scratch_store_b128 off, v[1:4], off offset:240
	scratch_store_b128 off, v[5:8], off offset:256
	scratch_store_b128 off, v[9:12], off offset:272
	scratch_store_b128 off, v[13:16], off offset:288
	scratch_store_b128 off, v[17:20], off offset:304
	scratch_store_b128 off, v[21:24], off offset:320
	scratch_store_b128 off, v[25:28], off offset:336
	scratch_store_b128 off, v[29:32], off offset:352
	v_cndmask_b32_e64 v16, v68, v71, s2
	s_clause 0x7
	scratch_store_b128 off, v[1:4], off offset:368
	scratch_store_b128 off, v[5:8], off offset:384
	scratch_store_b128 off, v[9:12], off offset:400
	scratch_store_b128 off, v[13:16], off offset:416
	scratch_store_b128 off, v[17:20], off offset:432
	scratch_store_b128 off, v[21:24], off offset:448
	scratch_store_b128 off, v[25:28], off offset:464
	scratch_store_b128 off, v[29:32], off offset:480
	v_cndmask_b32_e64 v16, v59, v70, s2
	;; [unrolled: 10-line block ×4, first 2 shown]
	s_clause 0x7
	scratch_store_b128 off, v[0:3], off offset:752
	scratch_store_b128 off, v[4:7], off offset:768
	;; [unrolled: 1-line block ×8, first 2 shown]
.LBB0_103:
	s_or_b32 exec_lo, exec_lo, s23
	scratch_store_b32 off, v121, off offset:104
	s_mov_b32 s2, exec_lo
	s_clause 0x7
	scratch_load_b128 v[54:57], off, off offset:2928
	scratch_load_b128 v[58:61], off, off offset:2944
	;; [unrolled: 1-line block ×8, first 2 shown]
	v_dual_mov_b32 v52, v111 :: v_dual_mov_b32 v53, v112
	s_and_b32 s0, s2, s0
	s_waitcnt vmcnt(3)
	v_mov_b32_e32 v54, v70
	s_mov_b32 exec_lo, s0
	s_cbranch_execz .LBB0_112
; %bb.104:
	s_mov_b32 s3, 0
	s_branch .LBB0_106
.LBB0_105:                              ;   in Loop: Header=BB0_106 Depth=1
	s_or_b32 exec_lo, exec_lo, s4
	s_waitcnt vmcnt(0)
	v_cmp_gt_i32_e32 vcc_lo, 0, v16
	v_mov_b32_e32 v113, v16
	s_or_b32 s3, vcc_lo, s3
	s_delay_alu instid0(SALU_CYCLE_1)
	s_and_not1_b32 exec_lo, exec_lo, s3
	s_cbranch_execz .LBB0_112
.LBB0_106:                              ; =>This Inner Loop Header: Depth=1
	s_clause 0x7
	scratch_load_b128 v[55:58], off, off offset:496
	scratch_load_b128 v[59:62], off, off offset:512
	;; [unrolled: 1-line block ×8, first 2 shown]
	v_cmp_eq_u32_e32 vcc_lo, 1, v113
	v_cmp_eq_u32_e64 s0, 2, v113
	v_cndmask_b32_e32 v16, v223, v227, vcc_lo
	v_cndmask_b32_e32 v20, v222, v226, vcc_lo
	v_cmp_eq_u32_e32 vcc_lo, 3, v113
	s_delay_alu instid0(VALU_DEP_3) | instskip(NEXT) | instid1(VALU_DEP_3)
	v_cndmask_b32_e64 v16, v16, v225, s0
	v_cndmask_b32_e64 v20, v20, v224, s0
	s_mov_b32 s0, 0
	s_delay_alu instid0(VALU_DEP_2) | instskip(NEXT) | instid1(VALU_DEP_2)
	v_cndmask_b32_e32 v16, v16, v98, vcc_lo
	v_cndmask_b32_e32 v20, v20, v97, vcc_lo
	v_cmp_eq_u32_e32 vcc_lo, 4, v113
	s_delay_alu instid0(VALU_DEP_3) | instskip(NEXT) | instid1(VALU_DEP_3)
	v_cndmask_b32_e32 v16, v16, v108, vcc_lo
	v_cndmask_b32_e32 v20, v20, v107, vcc_lo
	v_cmp_eq_u32_e32 vcc_lo, 5, v113
	s_delay_alu instid0(VALU_DEP_3) | instskip(NEXT) | instid1(VALU_DEP_3)
	v_cndmask_b32_e32 v16, v16, v135, vcc_lo
	v_cndmask_b32_e32 v20, v20, v146, vcc_lo
	v_cmp_eq_u32_e32 vcc_lo, 6, v113
	s_waitcnt vmcnt(4)
	s_delay_alu instid0(VALU_DEP_3)
	v_cndmask_b32_e32 v16, v16, v68, vcc_lo
	s_clause 0x7
	scratch_load_b128 v[55:58], off, off offset:752
	scratch_load_b128 v[59:62], off, off offset:768
	;; [unrolled: 1-line block ×8, first 2 shown]
	s_waitcnt vmcnt(4)
	v_cndmask_b32_e32 v20, v20, v67, vcc_lo
	s_clause 0x7
	scratch_load_b128 v[55:58], off, off offset:368
	scratch_load_b128 v[59:62], off, off offset:384
	;; [unrolled: 1-line block ×8, first 2 shown]
	v_cmp_eq_u32_e32 vcc_lo, 7, v113
	s_waitcnt vmcnt(4)
	v_cndmask_b32_e32 v16, v16, v70, vcc_lo
	s_clause 0x7
	scratch_load_b128 v[55:58], off, off offset:624
	scratch_load_b128 v[59:62], off, off offset:640
	;; [unrolled: 1-line block ×8, first 2 shown]
	s_waitcnt vmcnt(4)
	v_cndmask_b32_e32 v20, v20, v69, vcc_lo
	s_clause 0x7
	scratch_load_b128 v[55:58], off, off offset:240
	scratch_load_b128 v[59:62], off, off offset:256
	;; [unrolled: 1-line block ×8, first 2 shown]
	v_cmp_eq_u32_e32 vcc_lo, 8, v113
	v_cndmask_b32_e32 v20, v20, v99, vcc_lo
	s_waitcnt vmcnt(3)
	v_cndmask_b32_e32 v21, v16, v72, vcc_lo
	s_delay_alu instid0(VALU_DEP_1) | instskip(SKIP_3) | instid1(SALU_CYCLE_1)
	v_cmp_ngt_f64_e32 vcc_lo, 0, v[20:21]
	v_lshl_add_u32 v21, v113, 2, 16
                                        ; implicit-def: $vgpr20
	scratch_load_b32 v16, v21, off
	s_and_saveexec_b32 s4, vcc_lo
	s_xor_b32 s4, exec_lo, s4
	s_cbranch_execnz .LBB0_109
; %bb.107:                              ;   in Loop: Header=BB0_106 Depth=1
	s_and_not1_saveexec_b32 s4, s4
	s_cbranch_execnz .LBB0_110
.LBB0_108:                              ;   in Loop: Header=BB0_106 Depth=1
	s_or_b32 exec_lo, exec_lo, s4
	s_and_saveexec_b32 s4, s0
	s_cbranch_execz .LBB0_105
	s_branch .LBB0_111
.LBB0_109:                              ;   in Loop: Header=BB0_106 Depth=1
	scratch_load_b32 v20, off, off offset:104
                                        ; implicit-def: $vgpr21
	s_waitcnt vmcnt(0)
	v_cmp_eq_u32_e32 vcc_lo, -1, v20
	v_mov_b32_e32 v20, 0x68
	s_and_b32 s0, vcc_lo, exec_lo
	s_and_not1_saveexec_b32 s4, s4
	s_cbranch_execz .LBB0_108
.LBB0_110:                              ;   in Loop: Header=BB0_106 Depth=1
	scratch_load_b32 v22, off, off offset:108
	v_mov_b32_e32 v20, 0x6c
	s_or_b32 s0, s0, exec_lo
	s_waitcnt vmcnt(0)
	scratch_store_b32 v21, v22, off
	s_or_b32 exec_lo, exec_lo, s4
	s_and_saveexec_b32 s4, s0
	s_cbranch_execz .LBB0_105
.LBB0_111:                              ;   in Loop: Header=BB0_106 Depth=1
	scratch_store_b32 v20, v113, off
	s_branch .LBB0_105
.LBB0_112:
	s_or_b32 exec_lo, exec_lo, s2
	s_and_saveexec_b32 s0, s1
; %bb.113:
	v_max_f64 v[12:13], v[115:116], v[115:116]
	v_max_f64 v[14:15], v[117:118], v[117:118]
	s_delay_alu instid0(VALU_DEP_1) | instskip(SKIP_2) | instid1(VALU_DEP_3)
	v_min_f64 v[12:13], v[14:15], v[12:13]
	v_lshl_add_u32 v14, v119, 2, 16
	v_lshl_add_u32 v15, v41, 2, 16
	v_cmp_ngt_f64_e32 vcc_lo, 0, v[12:13]
	v_lshl_add_u32 v13, v30, 2, 16
	v_cndmask_b32_e32 v12, -1, v120, vcc_lo
	s_clause 0x2
	scratch_store_b32 v14, v41, off
	scratch_store_b32 v15, v30, off
	;; [unrolled: 1-line block ×3, first 2 shown]
; %bb.114:
	s_or_b32 exec_lo, exec_lo, s0
	scratch_load_b32 v12, off, off offset:104
	s_waitcnt vmcnt(0)
	v_cmp_lt_i32_e32 vcc_lo, -1, v12
	s_mov_b32 s8, exec_lo
	s_clause 0x7
	scratch_load_b128 v[20:23], off, off offset:880
	scratch_load_b128 v[24:27], off, off offset:896
	;; [unrolled: 1-line block ×8, first 2 shown]
	s_and_b32 s0, s8, vcc_lo
	s_waitcnt vmcnt(6)
	v_dual_mov_b32 v21, v26 :: v_dual_mov_b32 v22, v27
	s_mov_b32 exec_lo, s0
	s_cbranch_execz .LBB0_118
; %bb.115:
	s_clause 0x7
	scratch_load_b128 v[55:58], off, off offset:2800
	scratch_load_b128 v[59:62], off, off offset:2816
	;; [unrolled: 1-line block ×8, first 2 shown]
	v_dual_mov_b32 v13, v12 :: v_dual_mov_b32 v8, v125
	v_mov_b32_e32 v9, v126
	s_mov_b32 s9, 0
	s_waitcnt vmcnt(3)
	v_mov_b32_e32 v18, v72
	s_clause 0x7
	scratch_load_b128 v[55:58], off, off offset:1008
	scratch_load_b128 v[59:62], off, off offset:1024
	scratch_load_b128 v[63:66], off, off offset:1040
	scratch_load_b128 v[67:70], off, off offset:1056
	scratch_load_b128 v[71:74], off, off offset:1072
	scratch_load_b128 v[75:78], off, off offset:1088
	scratch_load_b128 v[79:82], off, off offset:1104
	scratch_load_b128 v[83:86], off, off offset:1120
	s_waitcnt vmcnt(4)
	v_mov_b32_e32 v19, v70
	s_clause 0x7
	scratch_load_b128 v[55:58], off, off offset:1136
	scratch_load_b128 v[59:62], off, off offset:1152
	scratch_load_b128 v[63:66], off, off offset:1168
	scratch_load_b128 v[67:70], off, off offset:1184
	scratch_load_b128 v[71:74], off, off offset:1200
	scratch_load_b128 v[75:78], off, off offset:1216
	scratch_load_b128 v[79:82], off, off offset:1232
	scratch_load_b128 v[83:86], off, off offset:1248
	;; [unrolled: 11-line block ×15, first 2 shown]
	s_waitcnt vmcnt(5)
	v_mov_b32_e32 v36, v65
.LBB0_116:                              ; =>This Inner Loop Header: Depth=1
	v_cmp_eq_u32_e32 vcc_lo, 1, v13
	v_cmp_eq_u32_e64 s0, 2, v13
	v_cmp_eq_u32_e64 s1, 3, v13
	v_cmp_eq_u32_e64 s2, 4, v13
	v_cmp_eq_u32_e64 s3, 5, v13
	v_cmp_eq_u32_e64 s4, 6, v13
	v_cmp_eq_u32_e64 s5, 7, v13
	v_cmp_eq_u32_e64 s6, 8, v13
	v_cmp_eq_u32_e64 s7, 0, v13
	v_lshl_add_u32 v13, v13, 2, 16
	v_dual_cndmask_b32 v14, v242, v246 :: v_dual_cndmask_b32 v15, v241, v245
	v_cndmask_b32_e32 v17, v243, v239, vcc_lo
	scratch_load_b32 v13, v13, off
	v_cndmask_b32_e64 v14, v14, v250, s0
	v_cndmask_b32_e64 v15, v15, v249, s0
	;; [unrolled: 1-line block ×3, first 2 shown]
	s_delay_alu instid0(VALU_DEP_3) | instskip(NEXT) | instid1(VALU_DEP_3)
	v_cndmask_b32_e64 v14, v14, v193, s1
	v_cndmask_b32_e64 v15, v15, v192, s1
	s_delay_alu instid0(VALU_DEP_3) | instskip(NEXT) | instid1(VALU_DEP_3)
	v_cndmask_b32_e64 v17, v17, v21, s1
	v_cndmask_b32_e64 v14, v14, v9, s2
	;; [unrolled: 3-line block ×8, first 2 shown]
	s_delay_alu instid0(VALU_DEP_3) | instskip(SKIP_1) | instid1(VALU_DEP_2)
	v_cndmask_b32_e64 v14, v16, v33, s6
	v_cndmask_b32_e32 v16, v244, v240, vcc_lo
	v_add_f64 v[14:15], -v[14:15], 1.0
	s_delay_alu instid0(VALU_DEP_2) | instskip(NEXT) | instid1(VALU_DEP_1)
	v_cndmask_b32_e64 v16, v16, v238, s0
	v_cndmask_b32_e64 v16, v16, v22, s1
	s_delay_alu instid0(VALU_DEP_1) | instskip(NEXT) | instid1(VALU_DEP_1)
	v_cndmask_b32_e64 v16, v16, v53, s2
	v_cndmask_b32_e64 v16, v16, v24, s3
	s_delay_alu instid0(VALU_DEP_1) | instskip(NEXT) | instid1(VALU_DEP_1)
	v_cndmask_b32_e64 v16, v16, v23, s4
	v_cndmask_b32_e64 v16, v16, v19, s5
	s_delay_alu instid0(VALU_DEP_1) | instskip(SKIP_1) | instid1(VALU_DEP_1)
	v_cndmask_b32_e64 v17, v16, v18, s6
	v_cndmask_b32_e64 v16, v20, v25, s6
	v_add_f64 v[14:15], v[14:15], -v[16:17]
	s_delay_alu instid0(VALU_DEP_1)
	v_dual_cndmask_b32 v219, v219, v15 :: v_dual_cndmask_b32 v218, v218, v14
	v_cndmask_b32_e64 v87, v87, v15, s6
	v_cndmask_b32_e64 v54, v54, v14, s6
	v_cndmask_b32_e64 v88, v88, v15, s5
	v_cndmask_b32_e64 v92, v92, v14, s5
	v_cndmask_b32_e64 v89, v89, v15, s4
	v_cndmask_b32_e64 v95, v95, v14, s4
	v_cndmask_b32_e64 v90, v90, v15, s3
	v_cndmask_b32_e64 v96, v96, v14, s3
	v_cndmask_b32_e64 v185, v185, v15, s2
	v_cndmask_b32_e64 v184, v184, v14, s2
	v_cndmask_b32_e64 v175, v175, v15, s1
	v_cndmask_b32_e64 v174, v174, v14, s1
	v_cndmask_b32_e64 v253, v253, v15, s0
	v_cndmask_b32_e64 v252, v252, v14, s0
	v_cndmask_b32_e64 v221, v221, v15, s7
	v_cndmask_b32_e64 v220, v220, v14, s7
	s_waitcnt vmcnt(0)
	v_cmp_gt_i32_e32 vcc_lo, 0, v13
	s_or_b32 s9, vcc_lo, s9
	s_delay_alu instid0(SALU_CYCLE_1)
	s_and_not1_b32 exec_lo, exec_lo, s9
	s_cbranch_execnz .LBB0_116
; %bb.117:
	s_or_b32 exec_lo, exec_lo, s9
.LBB0_118:
	s_delay_alu instid0(SALU_CYCLE_1) | instskip(NEXT) | instid1(SALU_CYCLE_1)
	s_or_b32 exec_lo, exec_lo, s8
	s_mov_b32 s7, exec_lo
	v_cmpx_lt_i32_e32 -1, v12
	s_cbranch_execz .LBB0_124
; %bb.119:
	v_lshl_add_u32 v13, v12, 2, 16
	s_mov_b32 s8, exec_lo
	scratch_load_b32 v20, v13, off
	s_waitcnt vmcnt(0)
	v_lshl_add_u32 v13, v20, 2, 16
	scratch_load_b32 v36, v13, off
	s_waitcnt vmcnt(0)
	v_cmpx_lt_i32_e32 -1, v36
	s_cbranch_execz .LBB0_123
; %bb.120:
	s_clause 0x7
	scratch_load_b128 v[55:58], off, off offset:2160
	scratch_load_b128 v[59:62], off, off offset:2176
	;; [unrolled: 1-line block ×8, first 2 shown]
	v_cmp_eq_u32_e32 vcc_lo, 1, v12
	v_cmp_eq_u32_e64 s0, 2, v12
	v_cmp_eq_u32_e64 s1, 3, v12
	;; [unrolled: 1-line block ×7, first 2 shown]
	v_dual_cndmask_b32 v13, v242, v246 :: v_dual_cndmask_b32 v12, v241, v245
	v_cndmask_b32_e32 v17, v220, v218, vcc_lo
	s_mov_b32 s9, 0
	v_cndmask_b32_e32 v14, v244, v240, vcc_lo
	s_delay_alu instid0(VALU_DEP_3) | instskip(SKIP_2) | instid1(VALU_DEP_4)
	v_cndmask_b32_e64 v13, v13, v250, s0
	v_cndmask_b32_e64 v12, v12, v249, s0
	;; [unrolled: 1-line block ×4, first 2 shown]
	s_delay_alu instid0(VALU_DEP_4) | instskip(NEXT) | instid1(VALU_DEP_4)
	v_cndmask_b32_e64 v13, v13, v193, s1
	v_cndmask_b32_e64 v12, v12, v192, s1
	s_delay_alu instid0(VALU_DEP_4) | instskip(NEXT) | instid1(VALU_DEP_3)
	v_cndmask_b32_e64 v17, v17, v174, s1
	v_cndmask_b32_e64 v13, v13, v126, s2
	s_delay_alu instid0(VALU_DEP_3) | instskip(NEXT) | instid1(VALU_DEP_3)
	v_cndmask_b32_e64 v12, v12, v125, s2
	v_cndmask_b32_e64 v17, v17, v184, s2
	s_delay_alu instid0(VALU_DEP_1) | instskip(NEXT) | instid1(VALU_DEP_1)
	v_cndmask_b32_e64 v17, v17, v96, s3
	v_cndmask_b32_e64 v17, v17, v95, s4
	s_delay_alu instid0(VALU_DEP_1)
	v_cndmask_b32_e64 v21, v17, v92, s5
	s_waitcnt vmcnt(5)
	v_mov_b32_e32 v94, v66
	s_clause 0x7
	scratch_load_b128 v[55:58], off, off offset:2032
	scratch_load_b128 v[59:62], off, off offset:2048
	;; [unrolled: 1-line block ×8, first 2 shown]
	s_waitcnt vmcnt(4)
	v_mov_b32_e32 v93, v68
	s_clause 0x7
	scratch_load_b128 v[55:58], off, off offset:1904
	scratch_load_b128 v[59:62], off, off offset:1920
	;; [unrolled: 1-line block ×8, first 2 shown]
	v_cndmask_b32_e64 v13, v13, v94, s3
	s_delay_alu instid0(VALU_DEP_1)
	v_cndmask_b32_e64 v13, v13, v93, s4
	s_waitcnt vmcnt(4)
	v_mov_b32_e32 v91, v70
	s_clause 0x7
	scratch_load_b128 v[55:58], off, off offset:2672
	scratch_load_b128 v[59:62], off, off offset:2688
	scratch_load_b128 v[63:66], off, off offset:2704
	scratch_load_b128 v[67:70], off, off offset:2720
	scratch_load_b128 v[71:74], off, off offset:2736
	scratch_load_b128 v[75:78], off, off offset:2752
	scratch_load_b128 v[79:82], off, off offset:2768
	scratch_load_b128 v[83:86], off, off offset:2784
	s_waitcnt vmcnt(5)
	v_mov_b32_e32 v99, v65
	s_clause 0x7
	scratch_load_b128 v[55:58], off, off offset:2544
	scratch_load_b128 v[59:62], off, off offset:2560
	scratch_load_b128 v[63:66], off, off offset:2576
	scratch_load_b128 v[67:70], off, off offset:2592
	scratch_load_b128 v[71:74], off, off offset:2608
	scratch_load_b128 v[75:78], off, off offset:2624
	scratch_load_b128 v[79:82], off, off offset:2640
	scratch_load_b128 v[83:86], off, off offset:2656
	;; [unrolled: 11-line block ×3, first 2 shown]
	v_cndmask_b32_e64 v13, v13, v91, s5
	s_waitcnt vmcnt(4)
	v_mov_b32_e32 v97, v69
	s_clause 0xf
	scratch_load_b128 v[55:58], off, off offset:112
	scratch_load_b128 v[59:62], off, off offset:128
	;; [unrolled: 1-line block ×16, first 2 shown]
	s_waitcnt vmcnt(10)
	v_dual_mov_b32 v77, v54 :: v_dual_mov_b32 v78, v72
	s_waitcnt vmcnt(3)
	v_mov_b32_e32 v79, v143
	s_clause 0x7
	scratch_load_b128 v[45:48], off, off offset:880
	scratch_load_b128 v[49:52], off, off offset:896
	;; [unrolled: 1-line block ×8, first 2 shown]
	s_waitcnt vmcnt(5)
	v_mov_b32_e32 v54, v88
	s_clause 0x7
	scratch_load_b128 v[127:130], off, off offset:1264
	scratch_load_b128 v[131:134], off, off offset:1280
	;; [unrolled: 1-line block ×8, first 2 shown]
	v_mov_b32_e32 v53, v87
	v_cndmask_b32_e64 v12, v12, v99, s3
	v_cndmask_b32_e64 v13, v13, v78, s6
	s_delay_alu instid0(VALU_DEP_2) | instskip(NEXT) | instid1(VALU_DEP_1)
	v_cndmask_b32_e64 v12, v12, v98, s4
	v_cndmask_b32_e64 v12, v12, v97, s5
	s_delay_alu instid0(VALU_DEP_1)
	v_cndmask_b32_e64 v12, v12, v79, s6
	v_cndmask_b32_e64 v14, v14, v52, s1
	s_waitcnt vmcnt(5)
	v_mov_b32_e32 v57, v138
	s_clause 0x7
	scratch_load_b128 v[127:130], off, off offset:1776
	scratch_load_b128 v[131:134], off, off offset:1792
	;; [unrolled: 1-line block ×8, first 2 shown]
	v_cndmask_b32_e64 v14, v14, v112, s2
	s_waitcnt vmcnt(5)
	v_mov_b32_e32 v61, v137
	s_clause 0x7
	scratch_load_b128 v[127:130], off, off offset:1136
	scratch_load_b128 v[131:134], off, off offset:1152
	scratch_load_b128 v[135:138], off, off offset:1168
	scratch_load_b128 v[139:142], off, off offset:1184
	scratch_load_b128 v[143:146], off, off offset:1200
	scratch_load_b128 v[147:150], off, off offset:1216
	scratch_load_b128 v[151:154], off, off offset:1232
	scratch_load_b128 v[155:158], off, off offset:1248
	s_waitcnt vmcnt(4)
	v_dual_cndmask_b32 v15, v243, v239 :: v_dual_mov_b32 v56, v140
	s_clause 0x7
	scratch_load_b128 v[127:130], off, off offset:1648
	scratch_load_b128 v[131:134], off, off offset:1664
	;; [unrolled: 1-line block ×8, first 2 shown]
	v_cndmask_b32_e64 v15, v15, v237, s0
	s_delay_alu instid0(VALU_DEP_1) | instskip(NEXT) | instid1(VALU_DEP_1)
	v_cndmask_b32_e64 v15, v15, v51, s1
	v_cndmask_b32_e64 v15, v15, v111, s2
	s_delay_alu instid0(VALU_DEP_1)
	v_cndmask_b32_e64 v15, v15, v61, s3
	s_waitcnt vmcnt(4)
	v_mov_b32_e32 v60, v139
	s_clause 0x7
	scratch_load_b128 v[127:130], off, off offset:1008
	scratch_load_b128 v[131:134], off, off offset:1024
	;; [unrolled: 1-line block ×8, first 2 shown]
	v_cndmask_b32_e64 v15, v15, v60, s4
	s_waitcnt vmcnt(4)
	v_mov_b32_e32 v19, v142
	s_clause 0x7
	scratch_load_b128 v[127:130], off, off offset:1520
	scratch_load_b128 v[131:134], off, off offset:1536
	;; [unrolled: 1-line block ×8, first 2 shown]
	s_waitcnt vmcnt(4)
	v_mov_b32_e32 v59, v141
	s_clause 0x7
	scratch_load_b128 v[127:130], off, off offset:2800
	scratch_load_b128 v[131:134], off, off offset:2816
	;; [unrolled: 1-line block ×8, first 2 shown]
	v_mov_b32_e32 v55, v89
	v_cndmask_b32_e64 v16, v15, v59, s5
	s_waitcnt vmcnt(3)
	v_mov_b32_e32 v18, v144
	s_clause 0x7
	scratch_load_b128 v[127:130], off, off offset:1392
	scratch_load_b128 v[131:134], off, off offset:1408
	;; [unrolled: 1-line block ×8, first 2 shown]
	s_waitcnt vmcnt(3)
	v_mov_b32_e32 v58, v143
	v_cndmask_b32_e64 v14, v14, v57, s3
	s_delay_alu instid0(VALU_DEP_1) | instskip(NEXT) | instid1(VALU_DEP_1)
	v_cndmask_b32_e64 v14, v14, v56, s4
	v_cndmask_b32_e64 v14, v14, v19, s5
	s_delay_alu instid0(VALU_DEP_1) | instskip(SKIP_3) | instid1(VALU_DEP_2)
	v_cndmask_b32_e64 v15, v14, v18, s6
	v_cndmask_b32_e64 v14, v16, v58, s6
	v_cndmask_b32_e32 v16, v221, v219, vcc_lo
	v_cmp_eq_u32_e32 vcc_lo, 1, v20
	v_cndmask_b32_e64 v16, v16, v253, s0
	v_cmp_eq_u32_e64 s0, 2, v20
	v_dual_cndmask_b32 v22, v242, v246 :: v_dual_cndmask_b32 v23, v241, v245
	s_delay_alu instid0(VALU_DEP_3) | instskip(SKIP_1) | instid1(VALU_DEP_3)
	v_cndmask_b32_e64 v16, v16, v175, s1
	v_cmp_eq_u32_e64 s1, 3, v20
	v_cndmask_b32_e64 v22, v22, v250, s0
	s_delay_alu instid0(VALU_DEP_4) | instskip(NEXT) | instid1(VALU_DEP_4)
	v_cndmask_b32_e64 v23, v23, v249, s0
	v_cndmask_b32_e64 v16, v16, v185, s2
	v_cmp_eq_u32_e64 s2, 4, v20
	s_delay_alu instid0(VALU_DEP_4) | instskip(NEXT) | instid1(VALU_DEP_4)
	v_cndmask_b32_e64 v22, v22, v193, s1
	v_cndmask_b32_e64 v23, v23, v192, s1
	s_delay_alu instid0(VALU_DEP_4) | instskip(SKIP_1) | instid1(VALU_DEP_4)
	v_cndmask_b32_e64 v16, v16, v90, s3
	v_cmp_eq_u32_e64 s3, 5, v20
	v_cndmask_b32_e64 v22, v22, v126, s2
	s_delay_alu instid0(VALU_DEP_4) | instskip(NEXT) | instid1(VALU_DEP_4)
	v_cndmask_b32_e64 v23, v23, v125, s2
	v_cndmask_b32_e64 v16, v16, v55, s4
	v_cmp_eq_u32_e64 s4, 6, v20
	s_delay_alu instid0(VALU_DEP_4) | instskip(NEXT) | instid1(VALU_DEP_4)
	v_cndmask_b32_e64 v22, v22, v94, s3
	v_cndmask_b32_e64 v23, v23, v99, s3
	s_delay_alu instid0(VALU_DEP_4) | instskip(SKIP_1) | instid1(VALU_DEP_4)
	v_cndmask_b32_e64 v16, v16, v54, s5
	v_cmp_eq_u32_e64 s5, 7, v20
	v_cndmask_b32_e64 v22, v22, v93, s4
	s_delay_alu instid0(VALU_DEP_4) | instskip(NEXT) | instid1(VALU_DEP_4)
	v_cndmask_b32_e64 v23, v23, v98, s4
	v_cndmask_b32_e64 v17, v16, v53, s6
	v_cndmask_b32_e64 v16, v21, v77, s6
	v_cndmask_b32_e32 v21, v244, v240, vcc_lo
	v_cmp_eq_u32_e64 s6, 8, v20
	v_cndmask_b32_e32 v20, v243, v239, vcc_lo
	v_cndmask_b32_e64 v22, v22, v91, s5
	v_cndmask_b32_e64 v23, v23, v97, s5
	;; [unrolled: 1-line block ×3, first 2 shown]
	v_mul_f64 v[24:25], v[14:15], v[16:17]
	v_cndmask_b32_e64 v20, v20, v237, s0
	v_cndmask_b32_e64 v29, v22, v78, s6
	;; [unrolled: 1-line block ×3, first 2 shown]
	v_dual_cndmask_b32 v22, v221, v219 :: v_dual_cndmask_b32 v23, v220, v218
	v_cndmask_b32_e64 v21, v21, v52, s1
	v_cndmask_b32_e64 v20, v20, v51, s1
	s_delay_alu instid0(VALU_DEP_4) | instskip(NEXT) | instid1(VALU_DEP_4)
	v_add_f64 v[32:33], v[28:29], -v[12:13]
	v_cndmask_b32_e64 v22, v22, v253, s0
	v_cndmask_b32_e64 v23, v23, v252, s0
	;; [unrolled: 1-line block ×4, first 2 shown]
	v_mul_f64 v[26:27], v[16:17], v[16:17]
	v_cndmask_b32_e64 v22, v22, v175, s1
	v_cndmask_b32_e64 v23, v23, v174, s1
	;; [unrolled: 1-line block ×4, first 2 shown]
	s_delay_alu instid0(VALU_DEP_4) | instskip(NEXT) | instid1(VALU_DEP_4)
	v_cndmask_b32_e64 v22, v22, v185, s2
	v_cndmask_b32_e64 v23, v23, v184, s2
	s_delay_alu instid0(VALU_DEP_4) | instskip(NEXT) | instid1(VALU_DEP_4)
	v_cndmask_b32_e64 v21, v21, v56, s4
	v_cndmask_b32_e64 v20, v20, v60, s4
	;; [unrolled: 3-line block ×7, first 2 shown]
	s_delay_alu instid0(VALU_DEP_3) | instskip(NEXT) | instid1(VALU_DEP_3)
	v_add_f64 v[34:35], v[20:21], -v[14:15]
	v_cndmask_b32_e64 v31, v22, v53, s6
	s_delay_alu instid0(VALU_DEP_3)
	v_cndmask_b32_e64 v30, v23, v77, s6
	v_mul_f64 v[22:23], v[12:13], v[16:17]
.LBB0_121:                              ; =>This Inner Loop Header: Depth=1
	v_cmp_eq_u32_e32 vcc_lo, 1, v36
	v_cmp_eq_u32_e64 s0, 2, v36
	v_cmp_eq_u32_e64 s1, 3, v36
	;; [unrolled: 1-line block ×4, first 2 shown]
	v_dual_cndmask_b32 v37, v242, v246 :: v_dual_cndmask_b32 v38, v241, v245
	v_cmp_eq_u32_e64 s4, 6, v36
	v_cmp_eq_u32_e64 s5, 7, v36
	;; [unrolled: 1-line block ×3, first 2 shown]
	s_delay_alu instid0(VALU_DEP_4)
	v_cndmask_b32_e64 v37, v37, v250, s0
	v_cndmask_b32_e64 v38, v38, v249, s0
	v_fma_f64 v[47:48], v[30:31], v[30:31], v[26:27]
	v_add_f64 v[49:50], v[16:17], v[30:31]
	v_cndmask_b32_e32 v40, v243, v239, vcc_lo
	v_cndmask_b32_e64 v37, v37, v193, s1
	v_cndmask_b32_e64 v38, v38, v192, s1
	s_delay_alu instid0(VALU_DEP_3) | instskip(NEXT) | instid1(VALU_DEP_3)
	v_cndmask_b32_e64 v40, v40, v237, s0
	v_cndmask_b32_e64 v37, v37, v126, s2
	s_delay_alu instid0(VALU_DEP_3) | instskip(NEXT) | instid1(VALU_DEP_3)
	;; [unrolled: 3-line block ×7, first 2 shown]
	v_cndmask_b32_e64 v40, v40, v60, s4
	v_cndmask_b32_e64 v38, v37, v78, s6
	s_delay_alu instid0(VALU_DEP_3) | instskip(SKIP_1) | instid1(VALU_DEP_4)
	v_cndmask_b32_e64 v37, v39, v79, s6
	v_cndmask_b32_e32 v39, v244, v240, vcc_lo
	v_cndmask_b32_e64 v41, v40, v59, s5
	s_delay_alu instid0(VALU_DEP_2) | instskip(NEXT) | instid1(VALU_DEP_1)
	v_cndmask_b32_e64 v39, v39, v238, s0
	v_cndmask_b32_e64 v39, v39, v52, s1
	s_delay_alu instid0(VALU_DEP_1) | instskip(NEXT) | instid1(VALU_DEP_1)
	v_cndmask_b32_e64 v39, v39, v112, s2
	v_cndmask_b32_e64 v39, v39, v57, s3
	s_delay_alu instid0(VALU_DEP_1) | instskip(NEXT) | instid1(VALU_DEP_1)
	v_cndmask_b32_e64 v39, v39, v56, s4
	v_cndmask_b32_e64 v39, v39, v19, s5
	s_delay_alu instid0(VALU_DEP_1) | instskip(SKIP_2) | instid1(VALU_DEP_2)
	v_cndmask_b32_e64 v40, v39, v18, s6
	v_cndmask_b32_e64 v39, v41, v58, s6
	v_add_f64 v[41:42], v[37:38], -v[12:13]
	v_add_f64 v[43:44], v[39:40], -v[14:15]
	s_delay_alu instid0(VALU_DEP_2) | instskip(NEXT) | instid1(VALU_DEP_1)
	v_mul_f64 v[34:35], v[41:42], v[34:35]
	v_fma_f64 v[32:33], v[43:44], v[32:33], -v[34:35]
	v_dual_cndmask_b32 v34, v221, v219 :: v_dual_cndmask_b32 v35, v220, v218
	s_delay_alu instid0(VALU_DEP_1) | instskip(NEXT) | instid1(VALU_DEP_2)
	v_cndmask_b32_e64 v34, v34, v253, s0
	v_cndmask_b32_e64 v35, v35, v252, s0
	s_delay_alu instid0(VALU_DEP_2) | instskip(NEXT) | instid1(VALU_DEP_2)
	v_cndmask_b32_e64 v34, v34, v175, s1
	v_cndmask_b32_e64 v35, v35, v174, s1
	s_delay_alu instid0(VALU_DEP_2) | instskip(NEXT) | instid1(VALU_DEP_2)
	;; [unrolled: 3-line block ×6, first 2 shown]
	v_cndmask_b32_e64 v46, v34, v53, s6
	v_cndmask_b32_e64 v45, v35, v77, s6
	v_add_f64 v[34:35], v[12:13], v[28:29]
	v_fma_f64 v[28:29], v[28:29], v[30:31], v[22:23]
	s_delay_alu instid0(VALU_DEP_3) | instskip(SKIP_1) | instid1(VALU_DEP_4)
	v_fma_f64 v[47:48], v[45:46], v[45:46], v[47:48]
	v_add_f64 v[49:50], v[45:46], v[49:50]
	v_add_f64 v[34:35], v[34:35], v[37:38]
	s_delay_alu instid0(VALU_DEP_4) | instskip(NEXT) | instid1(VALU_DEP_4)
	v_fma_f64 v[28:29], v[45:46], v[37:38], v[28:29]
	v_fma_f64 v[47:48], v[16:17], v[30:31], v[47:48]
	s_delay_alu instid0(VALU_DEP_4) | instskip(SKIP_1) | instid1(VALU_DEP_3)
	v_fma_f64 v[10:11], v[49:50], v[32:33], v[10:11]
	v_mul_f64 v[49:50], v[49:50], v[32:33]
	v_fma_f64 v[47:48], v[16:17], v[45:46], v[47:48]
	s_delay_alu instid0(VALU_DEP_2) | instskip(NEXT) | instid1(VALU_DEP_2)
	v_mul_f64 v[34:35], v[34:35], v[49:50]
	v_fma_f64 v[47:48], v[45:46], v[30:31], v[47:48]
	v_fma_f64 v[30:31], v[20:21], v[30:31], v[24:25]
	v_add_f64 v[20:21], v[14:15], v[20:21]
	s_delay_alu instid0(VALU_DEP_4)
	v_fma_f64 v[28:29], v[28:29], v[32:33], v[34:35]
	v_dual_mov_b32 v34, v43 :: v_dual_mov_b32 v35, v44
	v_fma_f64 v[2:3], v[32:33], v[47:48], v[2:3]
	v_fma_f64 v[30:31], v[45:46], v[39:40], v[30:31]
	v_add_f64 v[20:21], v[39:40], v[20:21]
	v_add_f64 v[6:7], v[6:7], v[28:29]
	v_dual_mov_b32 v28, v37 :: v_dual_mov_b32 v29, v38
	s_delay_alu instid0(VALU_DEP_3) | instskip(NEXT) | instid1(VALU_DEP_1)
	v_mul_f64 v[20:21], v[20:21], v[49:50]
	v_fma_f64 v[20:21], v[30:31], v[32:33], v[20:21]
	v_dual_mov_b32 v32, v41 :: v_dual_mov_b32 v33, v42
	v_dual_mov_b32 v30, v45 :: v_dual_mov_b32 v31, v46
	s_delay_alu instid0(VALU_DEP_3)
	v_add_f64 v[4:5], v[4:5], v[20:21]
	v_lshl_add_u32 v20, v36, 2, 16
	scratch_load_b32 v36, v20, off
	v_dual_mov_b32 v20, v39 :: v_dual_mov_b32 v21, v40
	s_waitcnt vmcnt(0)
	v_cmp_gt_i32_e32 vcc_lo, 0, v36
	s_or_b32 s9, vcc_lo, s9
	s_delay_alu instid0(SALU_CYCLE_1)
	s_and_not1_b32 exec_lo, exec_lo, s9
	s_cbranch_execnz .LBB0_121
; %bb.122:
	s_or_b32 exec_lo, exec_lo, s9
.LBB0_123:
	s_delay_alu instid0(SALU_CYCLE_1)
	s_or_b32 exec_lo, exec_lo, s8
.LBB0_124:
	s_delay_alu instid0(SALU_CYCLE_1)
	s_or_b32 exec_lo, exec_lo, s7
	s_mov_b32 s1, 0x3fc55555
	s_mov_b32 s0, 0x55555555
	s_clause 0x1
	scratch_load_b64 v[8:9], off, off offset:3728
	scratch_load_b64 v[12:13], off, off offset:3736
	v_mul_f64 v[0:1], v[10:11], s[0:1]
	scratch_load_b64 v[10:11], off, off offset:3744 ; 8-byte Folded Reload
	s_mov_b32 s1, 0x3fa55555
	scratch_load_b64 v[24:25], off, off offset:3776 ; 8-byte Folded Reload
	v_mul_f64 v[6:7], v[6:7], s[0:1]
	v_mul_f64 v[4:5], v[4:5], s[0:1]
	;; [unrolled: 1-line block ×3, first 2 shown]
	s_waitcnt vmcnt(3)
	s_delay_alu instid0(VALU_DEP_3)
	v_mul_f64 v[8:9], v[8:9], v[6:7]
	s_waitcnt vmcnt(1)
	v_mul_f64 v[10:11], v[10:11], v[6:7]
	v_mul_f64 v[6:7], v[12:13], v[6:7]
	scratch_load_b64 v[12:13], off, off offset:3784 ; 8-byte Folded Reload
	v_fma_f64 v[6:7], v[247:248], v[0:1], v[6:7]
	s_waitcnt vmcnt(0)
	v_fma_f64 v[8:9], v[12:13], v[0:1], v[8:9]
	s_clause 0x1
	scratch_load_b128 v[12:15], off, off offset:3792
	scratch_load_b64 v[12:13], off, off offset:3712
	s_waitcnt vmcnt(1)
	v_fma_f64 v[10:11], v[14:15], v[0:1], v[10:11]
	s_waitcnt vmcnt(0)
	v_fma_f64 v[8:9], v[12:13], v[4:5], v[8:9]
	scratch_load_b64 v[12:13], off, off offset:3760 ; 8-byte Folded Reload
	s_waitcnt vmcnt(0)
	v_fma_f64 v[10:11], v[12:13], v[4:5], v[10:11]
	scratch_load_b64 v[12:13], off, off offset:3184 ; 8-byte Folded Reload
	;; [unrolled: 3-line block ×6, first 2 shown]
	s_waitcnt vmcnt(0)
	v_mul_f64 v[4:5], v[10:11], v[6:7]
	v_mul_f64 v[6:7], v[10:11], v[8:9]
	;; [unrolled: 1-line block ×4, first 2 shown]
	s_delay_alu instid0(VALU_DEP_4) | instskip(NEXT) | instid1(VALU_DEP_4)
	v_add_f64 v[20:21], v[4:5], 0
	v_add_f64 v[18:19], v[6:7], 0
	s_delay_alu instid0(VALU_DEP_4) | instskip(NEXT) | instid1(VALU_DEP_4)
	v_add_f64 v[16:17], v[2:3], 0
	v_add_f64 v[22:23], v[0:1], 0
.LBB0_125:
	s_or_b32 exec_lo, exec_lo, s24
	v_mad_u64_u32 v[10:11], null, 0x48, v24, 0
	v_mov_b32_e32 v2, 0
	s_delay_alu instid0(VALU_DEP_3) | instskip(SKIP_3) | instid1(VALU_DEP_1)
	v_dual_mov_b32 v6, v20 :: v_dual_mov_b32 v7, v21
	v_dual_mov_b32 v8, v18 :: v_dual_mov_b32 v9, v19
	;; [unrolled: 1-line block ×4, first 2 shown]
	v_mad_u64_u32 v[4:5], null, 0x48, v25, v[0:1]
	v_dual_mov_b32 v0, v22 :: v_dual_mov_b32 v1, v23
	s_delay_alu instid0(VALU_DEP_3) | instskip(NEXT) | instid1(VALU_DEP_3)
	v_dual_mov_b32 v15, v3 :: v_dual_mov_b32 v14, v2
	v_mov_b32_e32 v11, v4
	v_dual_mov_b32 v5, v3 :: v_dual_mov_b32 v4, v2
	s_delay_alu instid0(VALU_DEP_2)
	v_cmp_lt_u64_e32 vcc_lo, s[28:29], v[10:11]
	v_dual_mov_b32 v11, v3 :: v_dual_mov_b32 v10, v2
	s_and_saveexec_b32 s0, vcc_lo
; %bb.126:
	v_mov_b32_e32 v0, 0
	v_dual_mov_b32 v1, 0 :: v_dual_mov_b32 v2, v16
	v_dual_mov_b32 v3, v17 :: v_dual_mov_b32 v4, v18
	;; [unrolled: 1-line block ×3, first 2 shown]
	v_mov_b32_e32 v11, v21
	s_delay_alu instid0(VALU_DEP_4)
	v_dual_mov_b32 v7, v1 :: v_dual_mov_b32 v6, v0
	v_dual_mov_b32 v9, v1 :: v_dual_mov_b32 v8, v0
	;; [unrolled: 1-line block ×4, first 2 shown]
; %bb.127:
	s_or_b32 exec_lo, exec_lo, s0
	v_mbcnt_lo_u32_b32 v16, -1, 0
	s_mov_b64 s[0:1], 1
	s_waitcnt_vscnt null, 0x0
	s_barrier
	buffer_gl0_inv
.LBB0_128:                              ; =>This Inner Loop Header: Depth=1
	v_xor_b32_e32 v17, s0, v16
	v_cmp_gt_u64_e64 s2, s[0:1], 31
	s_lshl_b64 s[0:1], s[0:1], 1
	s_delay_alu instid0(VALU_DEP_2) | instskip(SKIP_1) | instid1(VALU_DEP_3)
	v_cmp_gt_i32_e32 vcc_lo, 32, v17
	v_cndmask_b32_e32 v17, v16, v17, vcc_lo
	s_and_b32 vcc_lo, exec_lo, s2
	s_delay_alu instid0(VALU_DEP_1)
	v_lshlrev_b32_e32 v32, 2, v17
	ds_bpermute_b32 v17, v32, v14
	ds_bpermute_b32 v18, v32, v15
	;; [unrolled: 1-line block ×16, first 2 shown]
	s_waitcnt lgkmcnt(14)
	v_add_f64 v[14:15], v[14:15], v[17:18]
	s_waitcnt lgkmcnt(12)
	v_add_f64 v[10:11], v[10:11], v[19:20]
	;; [unrolled: 2-line block ×8, first 2 shown]
	s_cbranch_vccz .LBB0_128
; %bb.129:
	v_and_b32_e32 v16, 63, v235
	s_mov_b32 s0, exec_lo
	s_delay_alu instid0(VALU_DEP_1)
	v_cmpx_eq_u32_e32 0, v16
	s_cbranch_execz .LBB0_131
; %bb.130:
	v_lshrrev_b32_e32 v16, 3, v235
	ds_store_2addr_b64 v16, v[0:1], v[6:7] offset1:2
	ds_store_2addr_b64 v16, v[8:9], v[12:13] offset0:4 offset1:6
	ds_store_2addr_b64 v16, v[14:15], v[10:11] offset0:8 offset1:10
	;; [unrolled: 1-line block ×3, first 2 shown]
.LBB0_131:
	s_or_b32 exec_lo, exec_lo, s0
	s_waitcnt lgkmcnt(0)
	s_barrier
	buffer_gl0_inv
	s_mov_b32 s0, exec_lo
	v_cmpx_gt_u32_e32 8, v235
	s_cbranch_execz .LBB0_133
; %bb.132:
	v_lshlrev_b32_e32 v0, 4, v235
	v_lshlrev_b64 v[2:3], 3, v[235:236]
	s_add_u32 s0, s26, s28
	s_addc_u32 s1, s27, s29
	ds_load_b64 v[0:1], v0
	v_add_co_u32 v2, vcc_lo, s0, v2
	v_add_co_ci_u32_e32 v3, vcc_lo, s1, v3, vcc_lo
	s_waitcnt lgkmcnt(0)
	global_store_b64 v[2:3], v[0:1], off
.LBB0_133:
	s_nop 0
	s_sendmsg sendmsg(MSG_DEALLOC_VGPRS)
	s_endpgm
	.section	.rodata,"a",@progbits
	.p2align	6, 0x0
	.amdhsa_kernel _ZN8rajaperf4apps16intsc_hexhex_hipILm64EEEvPdS2_mS2_
		.amdhsa_group_segment_fixed_size 128
		.amdhsa_private_segment_fixed_size 4192
		.amdhsa_kernarg_size 32
		.amdhsa_user_sgpr_count 15
		.amdhsa_user_sgpr_dispatch_ptr 0
		.amdhsa_user_sgpr_queue_ptr 0
		.amdhsa_user_sgpr_kernarg_segment_ptr 1
		.amdhsa_user_sgpr_dispatch_id 0
		.amdhsa_user_sgpr_private_segment_size 0
		.amdhsa_wavefront_size32 1
		.amdhsa_uses_dynamic_stack 0
		.amdhsa_enable_private_segment 1
		.amdhsa_system_sgpr_workgroup_id_x 1
		.amdhsa_system_sgpr_workgroup_id_y 0
		.amdhsa_system_sgpr_workgroup_id_z 0
		.amdhsa_system_sgpr_workgroup_info 0
		.amdhsa_system_vgpr_workitem_id 0
		.amdhsa_next_free_vgpr 256
		.amdhsa_next_free_sgpr 30
		.amdhsa_reserve_vcc 1
		.amdhsa_float_round_mode_32 0
		.amdhsa_float_round_mode_16_64 0
		.amdhsa_float_denorm_mode_32 3
		.amdhsa_float_denorm_mode_16_64 3
		.amdhsa_dx10_clamp 1
		.amdhsa_ieee_mode 1
		.amdhsa_fp16_overflow 0
		.amdhsa_workgroup_processor_mode 1
		.amdhsa_memory_ordered 1
		.amdhsa_forward_progress 0
		.amdhsa_shared_vgpr_count 0
		.amdhsa_exception_fp_ieee_invalid_op 0
		.amdhsa_exception_fp_denorm_src 0
		.amdhsa_exception_fp_ieee_div_zero 0
		.amdhsa_exception_fp_ieee_overflow 0
		.amdhsa_exception_fp_ieee_underflow 0
		.amdhsa_exception_fp_ieee_inexact 0
		.amdhsa_exception_int_div_zero 0
	.end_amdhsa_kernel
	.section	.text._ZN8rajaperf4apps16intsc_hexhex_hipILm64EEEvPdS2_mS2_,"axG",@progbits,_ZN8rajaperf4apps16intsc_hexhex_hipILm64EEEvPdS2_mS2_,comdat
.Lfunc_end0:
	.size	_ZN8rajaperf4apps16intsc_hexhex_hipILm64EEEvPdS2_mS2_, .Lfunc_end0-_ZN8rajaperf4apps16intsc_hexhex_hipILm64EEEvPdS2_mS2_
                                        ; -- End function
	.section	.AMDGPU.csdata,"",@progbits
; Kernel info:
; codeLenInByte = 68608
; NumSgprs: 32
; NumVgprs: 256
; ScratchSize: 4192
; MemoryBound: 0
; FloatMode: 240
; IeeeMode: 1
; LDSByteSize: 128 bytes/workgroup (compile time only)
; SGPRBlocks: 3
; VGPRBlocks: 31
; NumSGPRsForWavesPerEU: 32
; NumVGPRsForWavesPerEU: 256
; Occupancy: 5
; WaveLimiterHint : 0
; COMPUTE_PGM_RSRC2:SCRATCH_EN: 1
; COMPUTE_PGM_RSRC2:USER_SGPR: 15
; COMPUTE_PGM_RSRC2:TRAP_HANDLER: 0
; COMPUTE_PGM_RSRC2:TGID_X_EN: 1
; COMPUTE_PGM_RSRC2:TGID_Y_EN: 0
; COMPUTE_PGM_RSRC2:TGID_Z_EN: 0
; COMPUTE_PGM_RSRC2:TIDIG_COMP_CNT: 0
	.section	.text._ZN8rajaperf4apps32intsc_hexhex_hip_fixup_vv_64to72ILm64EEEvPdmS2_,"axG",@progbits,_ZN8rajaperf4apps32intsc_hexhex_hip_fixup_vv_64to72ILm64EEEvPdmS2_,comdat
	.protected	_ZN8rajaperf4apps32intsc_hexhex_hip_fixup_vv_64to72ILm64EEEvPdmS2_ ; -- Begin function _ZN8rajaperf4apps32intsc_hexhex_hip_fixup_vv_64to72ILm64EEEvPdmS2_
	.globl	_ZN8rajaperf4apps32intsc_hexhex_hip_fixup_vv_64to72ILm64EEEvPdmS2_
	.p2align	8
	.type	_ZN8rajaperf4apps32intsc_hexhex_hip_fixup_vv_64to72ILm64EEEvPdmS2_,@function
_ZN8rajaperf4apps32intsc_hexhex_hip_fixup_vv_64to72ILm64EEEvPdmS2_: ; @_ZN8rajaperf4apps32intsc_hexhex_hip_fixup_vv_64to72ILm64EEEvPdmS2_
; %bb.0:
	s_clause 0x1
	s_load_b128 s[4:7], s[0:1], 0x0
	s_load_b64 s[0:1], s[0:1], 0x10
	v_lshl_add_u32 v2, s15, 6, v0
	s_delay_alu instid0(VALU_DEP_1) | instskip(NEXT) | instid1(VALU_DEP_1)
	v_ashrrev_i32_e32 v3, 31, v2
	v_lshlrev_b64 v[6:7], 8, v[2:3]
	v_lshlrev_b64 v[4:5], 3, v[2:3]
	s_waitcnt lgkmcnt(0)
	v_mad_i64_i32 v[0:1], null, 0x240, v2, s[4:5]
	s_delay_alu instid0(VALU_DEP_3) | instskip(NEXT) | instid1(VALU_DEP_1)
	v_add_co_u32 v2, s0, s0, v6
	v_add_co_ci_u32_e64 v3, s0, s1, v7, s0
	s_mov_b32 s0, exec_lo
	v_cmpx_gt_u64_e64 s[6:7], v[4:5]
	s_cbranch_execz .LBB1_2
; %bb.1:
	s_clause 0x1
	global_load_b64 v[6:7], v[0:1], off
	global_load_b64 v[8:9], v[0:1], off offset:64
	s_waitcnt vmcnt(0)
	v_add_f64 v[6:7], v[6:7], v[8:9]
	global_store_b64 v[2:3], v[6:7], off
	s_clause 0x1
	global_load_b64 v[6:7], v[0:1], off offset:8
	global_load_b64 v[8:9], v[0:1], off offset:72
	s_waitcnt vmcnt(0)
	v_add_f64 v[6:7], v[6:7], v[8:9]
	global_store_b64 v[2:3], v[6:7], off offset:8
	s_clause 0x1
	global_load_b64 v[6:7], v[0:1], off offset:16
	global_load_b64 v[8:9], v[0:1], off offset:80
	s_waitcnt vmcnt(0)
	v_add_f64 v[6:7], v[6:7], v[8:9]
	global_store_b64 v[2:3], v[6:7], off offset:16
	;; [unrolled: 6-line block ×3, first 2 shown]
.LBB1_2:
	s_or_b32 exec_lo, exec_lo, s0
	v_or_b32_e32 v6, 1, v4
	v_mov_b32_e32 v7, v5
	s_mov_b32 s0, exec_lo
	s_delay_alu instid0(VALU_DEP_1)
	v_cmpx_gt_u64_e64 s[6:7], v[6:7]
	s_cbranch_execz .LBB1_4
; %bb.3:
	s_clause 0x1
	global_load_b64 v[6:7], v[0:1], off offset:96
	global_load_b64 v[8:9], v[0:1], off offset:128
	s_waitcnt vmcnt(0)
	v_add_f64 v[6:7], v[6:7], v[8:9]
	global_store_b64 v[2:3], v[6:7], off offset:32
	s_clause 0x1
	global_load_b64 v[6:7], v[0:1], off offset:104
	global_load_b64 v[8:9], v[0:1], off offset:136
	s_waitcnt vmcnt(0)
	v_add_f64 v[6:7], v[6:7], v[8:9]
	global_store_b64 v[2:3], v[6:7], off offset:40
	s_clause 0x1
	global_load_b64 v[6:7], v[0:1], off offset:112
	global_load_b64 v[8:9], v[0:1], off offset:144
	s_waitcnt vmcnt(0)
	v_add_f64 v[6:7], v[6:7], v[8:9]
	global_store_b64 v[2:3], v[6:7], off offset:48
	s_clause 0x1
	global_load_b64 v[6:7], v[0:1], off offset:120
	global_load_b64 v[8:9], v[0:1], off offset:152
	s_waitcnt vmcnt(0)
	v_add_f64 v[6:7], v[6:7], v[8:9]
	global_store_b64 v[2:3], v[6:7], off offset:56
.LBB1_4:
	s_or_b32 exec_lo, exec_lo, s0
	v_or_b32_e32 v6, 2, v4
	v_mov_b32_e32 v7, v5
	s_mov_b32 s0, exec_lo
	s_delay_alu instid0(VALU_DEP_1)
	v_cmpx_gt_u64_e64 s[6:7], v[6:7]
	s_cbranch_execz .LBB1_6
; %bb.5:
	s_clause 0x1
	global_load_b64 v[6:7], v[0:1], off offset:160
	global_load_b64 v[8:9], v[0:1], off offset:192
	s_waitcnt vmcnt(0)
	v_add_f64 v[6:7], v[6:7], v[8:9]
	global_store_b64 v[2:3], v[6:7], off offset:64
	s_clause 0x1
	global_load_b64 v[6:7], v[0:1], off offset:168
	global_load_b64 v[8:9], v[0:1], off offset:200
	s_waitcnt vmcnt(0)
	v_add_f64 v[6:7], v[6:7], v[8:9]
	global_store_b64 v[2:3], v[6:7], off offset:72
	s_clause 0x1
	global_load_b64 v[6:7], v[0:1], off offset:176
	global_load_b64 v[8:9], v[0:1], off offset:208
	s_waitcnt vmcnt(0)
	v_add_f64 v[6:7], v[6:7], v[8:9]
	global_store_b64 v[2:3], v[6:7], off offset:80
	s_clause 0x1
	global_load_b64 v[6:7], v[0:1], off offset:184
	global_load_b64 v[8:9], v[0:1], off offset:216
	s_waitcnt vmcnt(0)
	v_add_f64 v[6:7], v[6:7], v[8:9]
	global_store_b64 v[2:3], v[6:7], off offset:88
.LBB1_6:
	;; [unrolled: 33-line block ×6, first 2 shown]
	s_or_b32 exec_lo, exec_lo, s0
	v_or_b32_e32 v4, 7, v4
	s_mov_b32 s0, exec_lo
	s_delay_alu instid0(VALU_DEP_1)
	v_cmpx_gt_u64_e64 s[6:7], v[4:5]
	s_cbranch_execz .LBB1_16
; %bb.15:
	s_clause 0x1
	global_load_b64 v[4:5], v[0:1], off offset:480
	global_load_b64 v[6:7], v[0:1], off offset:512
	s_waitcnt vmcnt(0)
	v_add_f64 v[4:5], v[4:5], v[6:7]
	global_store_b64 v[2:3], v[4:5], off offset:224
	s_clause 0x1
	global_load_b64 v[4:5], v[0:1], off offset:488
	global_load_b64 v[6:7], v[0:1], off offset:520
	s_waitcnt vmcnt(0)
	v_add_f64 v[4:5], v[4:5], v[6:7]
	global_store_b64 v[2:3], v[4:5], off offset:232
	;; [unrolled: 6-line block ×4, first 2 shown]
.LBB1_16:
	s_nop 0
	s_sendmsg sendmsg(MSG_DEALLOC_VGPRS)
	s_endpgm
	.section	.rodata,"a",@progbits
	.p2align	6, 0x0
	.amdhsa_kernel _ZN8rajaperf4apps32intsc_hexhex_hip_fixup_vv_64to72ILm64EEEvPdmS2_
		.amdhsa_group_segment_fixed_size 0
		.amdhsa_private_segment_fixed_size 0
		.amdhsa_kernarg_size 24
		.amdhsa_user_sgpr_count 15
		.amdhsa_user_sgpr_dispatch_ptr 0
		.amdhsa_user_sgpr_queue_ptr 0
		.amdhsa_user_sgpr_kernarg_segment_ptr 1
		.amdhsa_user_sgpr_dispatch_id 0
		.amdhsa_user_sgpr_private_segment_size 0
		.amdhsa_wavefront_size32 1
		.amdhsa_uses_dynamic_stack 0
		.amdhsa_enable_private_segment 0
		.amdhsa_system_sgpr_workgroup_id_x 1
		.amdhsa_system_sgpr_workgroup_id_y 0
		.amdhsa_system_sgpr_workgroup_id_z 0
		.amdhsa_system_sgpr_workgroup_info 0
		.amdhsa_system_vgpr_workitem_id 0
		.amdhsa_next_free_vgpr 10
		.amdhsa_next_free_sgpr 16
		.amdhsa_reserve_vcc 0
		.amdhsa_float_round_mode_32 0
		.amdhsa_float_round_mode_16_64 0
		.amdhsa_float_denorm_mode_32 3
		.amdhsa_float_denorm_mode_16_64 3
		.amdhsa_dx10_clamp 1
		.amdhsa_ieee_mode 1
		.amdhsa_fp16_overflow 0
		.amdhsa_workgroup_processor_mode 1
		.amdhsa_memory_ordered 1
		.amdhsa_forward_progress 0
		.amdhsa_shared_vgpr_count 0
		.amdhsa_exception_fp_ieee_invalid_op 0
		.amdhsa_exception_fp_denorm_src 0
		.amdhsa_exception_fp_ieee_div_zero 0
		.amdhsa_exception_fp_ieee_overflow 0
		.amdhsa_exception_fp_ieee_underflow 0
		.amdhsa_exception_fp_ieee_inexact 0
		.amdhsa_exception_int_div_zero 0
	.end_amdhsa_kernel
	.section	.text._ZN8rajaperf4apps32intsc_hexhex_hip_fixup_vv_64to72ILm64EEEvPdmS2_,"axG",@progbits,_ZN8rajaperf4apps32intsc_hexhex_hip_fixup_vv_64to72ILm64EEEvPdmS2_,comdat
.Lfunc_end1:
	.size	_ZN8rajaperf4apps32intsc_hexhex_hip_fixup_vv_64to72ILm64EEEvPdmS2_, .Lfunc_end1-_ZN8rajaperf4apps32intsc_hexhex_hip_fixup_vv_64to72ILm64EEEvPdmS2_
                                        ; -- End function
	.section	.AMDGPU.csdata,"",@progbits
; Kernel info:
; codeLenInByte = 1616
; NumSgprs: 16
; NumVgprs: 10
; ScratchSize: 0
; MemoryBound: 1
; FloatMode: 240
; IeeeMode: 1
; LDSByteSize: 0 bytes/workgroup (compile time only)
; SGPRBlocks: 1
; VGPRBlocks: 1
; NumSGPRsForWavesPerEU: 16
; NumVGPRsForWavesPerEU: 10
; Occupancy: 16
; WaveLimiterHint : 1
; COMPUTE_PGM_RSRC2:SCRATCH_EN: 0
; COMPUTE_PGM_RSRC2:USER_SGPR: 15
; COMPUTE_PGM_RSRC2:TRAP_HANDLER: 0
; COMPUTE_PGM_RSRC2:TGID_X_EN: 1
; COMPUTE_PGM_RSRC2:TGID_Y_EN: 0
; COMPUTE_PGM_RSRC2:TGID_Z_EN: 0
; COMPUTE_PGM_RSRC2:TIDIG_COMP_CNT: 0
	.section	.text._ZN8rajaperf17lambda_hip_forallILm64EZNS_4apps12INTSC_HEXHEX17runHipVariantImplILm64EEEvNS_9VariantIDEEUllE_EEvllT0_,"axG",@progbits,_ZN8rajaperf17lambda_hip_forallILm64EZNS_4apps12INTSC_HEXHEX17runHipVariantImplILm64EEEvNS_9VariantIDEEUllE_EEvllT0_,comdat
	.protected	_ZN8rajaperf17lambda_hip_forallILm64EZNS_4apps12INTSC_HEXHEX17runHipVariantImplILm64EEEvNS_9VariantIDEEUllE_EEvllT0_ ; -- Begin function _ZN8rajaperf17lambda_hip_forallILm64EZNS_4apps12INTSC_HEXHEX17runHipVariantImplILm64EEEvNS_9VariantIDEEUllE_EEvllT0_
	.globl	_ZN8rajaperf17lambda_hip_forallILm64EZNS_4apps12INTSC_HEXHEX17runHipVariantImplILm64EEEvNS_9VariantIDEEUllE_EEvllT0_
	.p2align	8
	.type	_ZN8rajaperf17lambda_hip_forallILm64EZNS_4apps12INTSC_HEXHEX17runHipVariantImplILm64EEEvNS_9VariantIDEEUllE_EEvllT0_,@function
_ZN8rajaperf17lambda_hip_forallILm64EZNS_4apps12INTSC_HEXHEX17runHipVariantImplILm64EEEvNS_9VariantIDEEUllE_EEvllT0_: ; @_ZN8rajaperf17lambda_hip_forallILm64EZNS_4apps12INTSC_HEXHEX17runHipVariantImplILm64EEEvNS_9VariantIDEEUllE_EEvllT0_
; %bb.0:
	s_load_b128 s[4:7], s[0:1], 0x0
	s_mov_b32 s2, s15
	s_mov_b32 s3, 0
	s_delay_alu instid0(SALU_CYCLE_1) | instskip(SKIP_2) | instid1(VALU_DEP_1)
	s_lshl_b64 s[2:3], s[2:3], 6
	s_waitcnt lgkmcnt(0)
	v_add_co_u32 v1, s4, v0, s4
	v_add_co_ci_u32_e64 v0, null, 0, s5, s4
	s_delay_alu instid0(VALU_DEP_2) | instskip(NEXT) | instid1(VALU_DEP_2)
	v_add_co_u32 v33, vcc_lo, v1, s2
	v_add_co_ci_u32_e32 v34, vcc_lo, s3, v0, vcc_lo
	s_mov_b32 s2, exec_lo
	s_delay_alu instid0(VALU_DEP_1)
	v_cmpx_gt_i64_e64 s[6:7], v[33:34]
	s_cbranch_execz .LBB2_138
; %bb.1:
	s_add_u32 s2, 0, 0x8e389f80
	s_addc_u32 s3, 0, 15
	s_mul_hi_u32 s5, s2, 0xffffffb8
	s_add_i32 s3, s3, 0x38e38d4
	s_mul_i32 s4, s2, 0xffffffb8
	s_mul_i32 s6, s3, 0xffffffb8
	s_mul_hi_u32 s7, s2, s4
	s_add_i32 s5, s5, s6
	v_ashrrev_i32_e32 v0, 31, v34
	s_sub_i32 s5, s5, s2
	s_mul_hi_u32 s6, s3, s4
	s_mul_i32 s8, s2, s5
	s_mul_hi_u32 s9, s2, s5
	s_mul_i32 s4, s3, s4
	s_add_u32 s7, s7, s8
	s_addc_u32 s8, 0, s9
	s_mul_hi_u32 s9, s3, s5
	s_add_u32 s4, s7, s4
	scratch_store_b32 off, v1, off offset:4080 ; 4-byte Folded Spill
	s_addc_u32 s4, s8, s6
	s_mul_i32 s5, s3, s5
	v_add_co_u32 v1, vcc_lo, v33, v0
	s_addc_u32 s6, s9, 0
	s_add_u32 s4, s4, s5
	s_addc_u32 s5, 0, s6
	v_add_co_u32 v7, s2, s2, s4
	v_add_co_ci_u32_e32 v2, vcc_lo, v34, v0, vcc_lo
	v_xor_b32_e32 v1, v1, v0
	s_cmp_lg_u32 s2, 0
	s_load_b128 s[24:27], s[0:1], 0x10
	s_addc_u32 s2, s3, s5
	v_xor_b32_e32 v2, v2, v0
	v_mad_u64_u32 v[3:4], null, v1, s2, 0
	v_mul_hi_u32 v8, v1, v7
	s_mov_b32 s23, exec_lo
	s_delay_alu instid0(VALU_DEP_3) | instskip(SKIP_2) | instid1(VALU_DEP_4)
	v_mad_u64_u32 v[5:6], null, v2, v7, 0
	v_mov_b32_e32 v16, 0
	v_mov_b32_e32 v17, 0
	v_add_co_u32 v7, vcc_lo, v8, v3
	v_add_co_ci_u32_e32 v8, vcc_lo, 0, v4, vcc_lo
	v_mad_u64_u32 v[3:4], null, v2, s2, 0
	s_delay_alu instid0(VALU_DEP_3) | instskip(NEXT) | instid1(VALU_DEP_3)
	v_add_co_u32 v5, vcc_lo, v7, v5
	v_add_co_ci_u32_e32 v5, vcc_lo, v8, v6, vcc_lo
	v_dual_mov_b32 v19, v17 :: v_dual_mov_b32 v18, v16
	s_delay_alu instid0(VALU_DEP_4) | instskip(NEXT) | instid1(VALU_DEP_3)
	v_add_co_ci_u32_e32 v4, vcc_lo, 0, v4, vcc_lo
	v_add_co_u32 v7, vcc_lo, v5, v3
	v_dual_mov_b32 v21, v17 :: v_dual_mov_b32 v20, v16
	s_delay_alu instid0(VALU_DEP_3) | instskip(NEXT) | instid1(VALU_DEP_3)
	v_add_co_ci_u32_e32 v8, vcc_lo, 0, v4, vcc_lo
	v_mad_u64_u32 v[3:4], null, 0x48, v7, 0
	v_dual_mov_b32 v23, v17 :: v_dual_mov_b32 v22, v16
	s_delay_alu instid0(VALU_DEP_2) | instskip(NEXT) | instid1(VALU_DEP_3)
	v_mad_u64_u32 v[5:6], null, 0x48, v8, v[4:5]
	v_sub_co_u32 v3, vcc_lo, v1, v3
	s_delay_alu instid0(VALU_DEP_2) | instskip(NEXT) | instid1(VALU_DEP_2)
	v_sub_co_ci_u32_e32 v4, vcc_lo, v2, v5, vcc_lo
	v_subrev_co_u32 v5, vcc_lo, 0x48, v3
	s_delay_alu instid0(VALU_DEP_2) | instskip(NEXT) | instid1(VALU_DEP_2)
	v_subrev_co_ci_u32_e32 v6, vcc_lo, 0, v4, vcc_lo
	v_cmp_lt_u32_e32 vcc_lo, 0x47, v5
	v_cmp_eq_u32_e64 s2, 0, v4
	v_cndmask_b32_e64 v5, 0, -1, vcc_lo
	v_add_co_u32 v9, vcc_lo, v7, 2
	v_add_co_ci_u32_e32 v10, vcc_lo, 0, v8, vcc_lo
	v_cmp_lt_u32_e32 vcc_lo, 0x47, v3
	v_cndmask_b32_e64 v3, 0, -1, vcc_lo
	v_cmp_eq_u32_e32 vcc_lo, 0, v6
	s_delay_alu instid0(VALU_DEP_2) | instskip(SKIP_3) | instid1(VALU_DEP_3)
	v_cndmask_b32_e64 v3, -1, v3, s2
	v_cndmask_b32_e32 v5, -1, v5, vcc_lo
	v_add_co_u32 v6, vcc_lo, v7, 1
	v_add_co_ci_u32_e32 v11, vcc_lo, 0, v8, vcc_lo
	v_cmp_ne_u32_e32 vcc_lo, 0, v5
	s_delay_alu instid0(VALU_DEP_2) | instskip(SKIP_1) | instid1(VALU_DEP_2)
	v_dual_cndmask_b32 v4, v11, v10 :: v_dual_cndmask_b32 v5, v6, v9
	v_cmp_ne_u32_e32 vcc_lo, 0, v3
	v_dual_cndmask_b32 v3, v8, v4 :: v_dual_cndmask_b32 v4, v7, v5
	s_delay_alu instid0(VALU_DEP_1) | instskip(NEXT) | instid1(VALU_DEP_2)
	v_xor_b32_e32 v3, v3, v0
	v_xor_b32_e32 v4, v4, v0
	s_delay_alu instid0(VALU_DEP_1) | instskip(NEXT) | instid1(VALU_DEP_3)
	v_sub_co_u32 v26, vcc_lo, v4, v0
	v_sub_co_ci_u32_e32 v27, vcc_lo, v3, v0, vcc_lo
	s_waitcnt lgkmcnt(0)
	s_delay_alu instid0(VALU_DEP_1)
	v_cmpx_gt_u64_e64 s[26:27], v[26:27]
	s_cbranch_execz .LBB2_130
; %bb.2:
	v_mad_u64_u32 v[3:4], null, 0x2aaaaaaa, v1, 0
	v_mul_hi_u32 v9, 0xaaaaaaaa, v1
	v_mad_u64_u32 v[5:6], null, 0xaaaaaaaa, v2, 0
	v_mad_u64_u32 v[7:8], null, 0x2aaaaaaa, v2, 0
	s_add_u32 s3, 0, 0x55540000
	s_addc_u32 s4, 0, 0x55
	s_mul_hi_u32 s6, s3, -12
	s_delay_alu instid0(VALU_DEP_3) | instskip(SKIP_2) | instid1(VALU_DEP_2)
	v_add_co_u32 v3, vcc_lo, v9, v3
	v_add_co_ci_u32_e32 v4, vcc_lo, 0, v4, vcc_lo
	s_mul_i32 s5, s3, -12
	v_add_co_u32 v3, vcc_lo, v3, v5
	s_delay_alu instid0(VALU_DEP_2) | instskip(SKIP_1) | instid1(VALU_DEP_2)
	v_add_co_ci_u32_e32 v3, vcc_lo, v4, v6, vcc_lo
	v_add_co_ci_u32_e32 v4, vcc_lo, 0, v8, vcc_lo
	v_add_co_u32 v7, vcc_lo, v3, v7
	s_delay_alu instid0(VALU_DEP_2) | instskip(NEXT) | instid1(VALU_DEP_2)
	v_add_co_ci_u32_e32 v8, vcc_lo, 0, v4, vcc_lo
	v_mad_u64_u32 v[3:4], null, v7, 6, 0
	s_delay_alu instid0(VALU_DEP_1) | instskip(NEXT) | instid1(VALU_DEP_2)
	v_mad_u64_u32 v[5:6], null, v8, 6, v[4:5]
	v_sub_co_u32 v1, vcc_lo, v1, v3
	s_delay_alu instid0(VALU_DEP_2) | instskip(NEXT) | instid1(VALU_DEP_2)
	v_sub_co_ci_u32_e32 v2, vcc_lo, v2, v5, vcc_lo
	v_sub_co_u32 v3, vcc_lo, v1, 6
	s_delay_alu instid0(VALU_DEP_2) | instskip(NEXT) | instid1(VALU_DEP_2)
	v_subrev_co_ci_u32_e32 v4, vcc_lo, 0, v2, vcc_lo
	v_cmp_lt_u32_e32 vcc_lo, 5, v3
	v_cmp_eq_u32_e64 s2, 0, v2
	v_cndmask_b32_e64 v3, 0, -1, vcc_lo
	v_add_co_u32 v5, vcc_lo, v7, 2
	v_add_co_ci_u32_e32 v6, vcc_lo, 0, v8, vcc_lo
	v_cmp_lt_u32_e32 vcc_lo, 5, v1
	v_cndmask_b32_e64 v1, 0, -1, vcc_lo
	v_cmp_eq_u32_e32 vcc_lo, 0, v4
	s_delay_alu instid0(VALU_DEP_2) | instskip(SKIP_3) | instid1(VALU_DEP_3)
	v_cndmask_b32_e64 v1, -1, v1, s2
	v_cndmask_b32_e32 v3, -1, v3, vcc_lo
	v_add_co_u32 v4, vcc_lo, v7, 1
	v_add_co_ci_u32_e32 v9, vcc_lo, 0, v8, vcc_lo
	v_cmp_ne_u32_e32 vcc_lo, 0, v3
	s_or_b32 s2, s4, 0x15555500
	s_mul_hi_u32 s4, s3, s5
	s_mul_i32 s7, s2, -12
	s_mul_hi_u32 s8, s2, s5
	v_dual_cndmask_b32 v2, v9, v6 :: v_dual_cndmask_b32 v3, v4, v5
	v_cmp_ne_u32_e32 vcc_lo, 0, v1
	s_add_i32 s6, s6, s7
	s_mul_i32 s5, s2, s5
	s_sub_i32 s6, s6, s3
	v_dual_cndmask_b32 v1, v8, v2 :: v_dual_cndmask_b32 v2, v7, v3
	s_mul_i32 s9, s3, s6
	s_mul_hi_u32 s7, s3, s6
	s_add_u32 s4, s4, s9
	s_delay_alu instid0(VALU_DEP_1)
	v_xor_b32_e32 v1, v1, v0
	v_xor_b32_e32 v2, v2, v0
	s_addc_u32 s7, 0, s7
	s_mul_hi_u32 s10, s2, s6
	s_add_u32 s4, s4, s5
	s_mul_i32 s6, s2, s6
	v_sub_co_u32 v9, vcc_lo, v2, v0
	v_sub_co_ci_u32_e32 v8, vcc_lo, v1, v0, vcc_lo
	s_addc_u32 s4, s7, s8
	s_addc_u32 s5, s10, 0
	s_add_u32 s4, s4, s6
	s_delay_alu instid0(VALU_DEP_1) | instskip(SKIP_3) | instid1(VALU_DEP_2)
	v_ashrrev_i32_e32 v7, 31, v8
	v_add_co_u32 v4, s3, s3, s4
	s_addc_u32 s5, 0, s5
	s_cmp_lg_u32 s3, 0
	v_add_co_u32 v0, vcc_lo, v9, v7
	v_add_co_ci_u32_e32 v1, vcc_lo, v8, v7, vcc_lo
	s_addc_u32 s2, s2, s5
	s_delay_alu instid0(VALU_DEP_2) | instskip(NEXT) | instid1(VALU_DEP_2)
	v_xor_b32_e32 v6, v0, v7
                                        ; implicit-def: $sgpr4_sgpr5
	v_xor_b32_e32 v10, v1, v7
	s_delay_alu instid0(VALU_DEP_2) | instskip(SKIP_1) | instid1(VALU_DEP_3)
	v_mad_u64_u32 v[0:1], null, v6, s2, 0
	v_mul_hi_u32 v11, v6, v4
	v_mad_u64_u32 v[2:3], null, v10, v4, 0
	v_mad_u64_u32 v[4:5], null, v10, s2, 0
	s_delay_alu instid0(VALU_DEP_3) | instskip(SKIP_1) | instid1(VALU_DEP_2)
	v_add_co_u32 v0, vcc_lo, v11, v0
	v_add_co_ci_u32_e32 v1, vcc_lo, 0, v1, vcc_lo
	v_add_co_u32 v0, vcc_lo, v0, v2
	s_delay_alu instid0(VALU_DEP_2) | instskip(SKIP_1) | instid1(VALU_DEP_2)
	v_add_co_ci_u32_e32 v0, vcc_lo, v1, v3, vcc_lo
	v_add_co_ci_u32_e32 v1, vcc_lo, 0, v5, vcc_lo
	v_add_co_u32 v2, vcc_lo, v0, v4
	s_delay_alu instid0(VALU_DEP_2) | instskip(NEXT) | instid1(VALU_DEP_2)
	v_add_co_ci_u32_e32 v4, vcc_lo, 0, v1, vcc_lo
	v_mad_u64_u32 v[0:1], null, v2, 12, 0
	s_delay_alu instid0(VALU_DEP_1) | instskip(NEXT) | instid1(VALU_DEP_2)
	v_mad_u64_u32 v[2:3], null, v4, 12, v[1:2]
	v_sub_co_u32 v0, vcc_lo, v6, v0
	s_delay_alu instid0(VALU_DEP_2) | instskip(NEXT) | instid1(VALU_DEP_2)
	v_sub_co_ci_u32_e32 v1, vcc_lo, v10, v2, vcc_lo
	v_sub_co_u32 v2, vcc_lo, v0, 12
	s_delay_alu instid0(VALU_DEP_2) | instskip(NEXT) | instid1(VALU_DEP_2)
	v_subrev_co_ci_u32_e32 v3, vcc_lo, 0, v1, vcc_lo
	v_cmp_lt_u32_e32 vcc_lo, 11, v2
	v_cmp_eq_u32_e64 s2, 0, v1
	v_cndmask_b32_e64 v4, 0, -1, vcc_lo
	v_cmp_lt_u32_e32 vcc_lo, 11, v0
	v_cndmask_b32_e64 v5, 0, -1, vcc_lo
	v_cmp_eq_u32_e32 vcc_lo, 0, v3
	s_delay_alu instid0(VALU_DEP_4) | instskip(SKIP_2) | instid1(VALU_DEP_3)
	v_cndmask_b32_e32 v4, -1, v4, vcc_lo
	v_sub_co_u32 v6, vcc_lo, v2, 12
	v_subrev_co_ci_u32_e32 v10, vcc_lo, 0, v3, vcc_lo
	v_cmp_ne_u32_e32 vcc_lo, 0, v4
	v_cndmask_b32_e64 v4, -1, v5, s2
	s_mov_b32 s2, exec_lo
	s_delay_alu instid0(VALU_DEP_3) | instskip(SKIP_1) | instid1(VALU_DEP_3)
	v_cndmask_b32_e32 v3, v3, v10, vcc_lo
	v_cndmask_b32_e32 v2, v2, v6, vcc_lo
	v_cmp_ne_u32_e32 vcc_lo, 0, v4
	s_delay_alu instid0(VALU_DEP_2) | instskip(NEXT) | instid1(VALU_DEP_1)
	v_dual_cndmask_b32 v1, v1, v3 :: v_dual_cndmask_b32 v0, v0, v2
                                        ; implicit-def: $vgpr2_vgpr3
	v_xor_b32_e32 v1, v1, v7
	s_delay_alu instid0(VALU_DEP_2) | instskip(NEXT) | instid1(VALU_DEP_1)
	v_xor_b32_e32 v0, v0, v7
	v_sub_co_u32 v6, vcc_lo, v0, v7
	s_delay_alu instid0(VALU_DEP_3) | instskip(NEXT) | instid1(VALU_DEP_1)
	v_sub_co_ci_u32_e32 v7, vcc_lo, v1, v7, vcc_lo
                                        ; implicit-def: $vgpr0_vgpr1
	v_cmpx_lt_i64_e32 5, v[6:7]
	s_xor_b32 s2, exec_lo, s2
; %bb.3:
	v_sub_co_u32 v2, vcc_lo, 12, v6
	v_sub_co_ci_u32_e32 v3, vcc_lo, 0, v7, vcc_lo
	v_sub_co_u32 v0, vcc_lo, 11, v6
	v_sub_co_ci_u32_e32 v1, vcc_lo, 0, v7, vcc_lo
	s_mov_b64 s[4:5], 7
                                        ; implicit-def: $vgpr6
; %bb.4:
	s_or_saveexec_b32 s6, s2
	s_load_b128 s[0:3], s[0:1], 0x20
	v_dual_mov_b32 v4, s4 :: v_dual_mov_b32 v5, s5
	s_xor_b32 exec_lo, exec_lo, s6
; %bb.5:
	v_add_co_u32 v0, vcc_lo, v6, 1
	v_mov_b32_e32 v4, 0
	v_dual_mov_b32 v5, 0 :: v_dual_mov_b32 v2, v6
	v_add_co_ci_u32_e32 v1, vcc_lo, 0, v7, vcc_lo
	v_mov_b32_e32 v3, v7
; %bb.6:
	s_or_b32 exec_lo, exec_lo, s6
	v_mad_u64_u32 v[6:7], null, v9, 6, 0
	s_getpc_b64 s[4:5]
	s_add_u32 s4, s4, __const._ZN8rajaperf14hex_intsc_subzEPKdS1_iiRdS2_S2_S2_.vert_cyc@rel32@lo+4
	s_addc_u32 s5, s5, __const._ZN8rajaperf14hex_intsc_subzEPKdS1_iiRdS2_S2_S2_.vert_cyc@rel32@hi+12
	v_mul_lo_u32 v21, 0xc0, v27
	scratch_store_b64 off, v[33:34], off offset:4092 ; 8-byte Folded Spill
	v_lshlrev_b64 v[2:3], 2, v[2:3]
	v_lshlrev_b64 v[0:1], 2, v[0:1]
	;; [unrolled: 1-line block ×3, first 2 shown]
	v_mad_u64_u32 v[9:10], null, v8, 6, v[7:8]
	v_sub_co_u32 v6, vcc_lo, v33, v6
	v_mov_b32_e32 v229, 2
                                        ; implicit-def: $sgpr15
	v_mov_b32_e32 v228, 1
	v_mov_b32_e32 v230, -1
	s_delay_alu instid0(VALU_DEP_4) | instskip(SKIP_1) | instid1(VALU_DEP_3)
	v_add_nc_u16 v8, v6, 1
	v_mov_b32_e32 v7, v9
	v_dual_mov_b32 v231, 4 :: v_dual_mov_b32 v232, v230
	s_delay_alu instid0(VALU_DEP_3) | instskip(NEXT) | instid1(VALU_DEP_3)
	v_bfe_i32 v9, v8, 0, 8
	v_sub_co_ci_u32_e32 v7, vcc_lo, v34, v7, vcc_lo
	v_mov_b32_e32 v233, v230
	v_mov_b32_e32 v238, v230
	s_delay_alu instid0(VALU_DEP_4) | instskip(NEXT) | instid1(VALU_DEP_4)
	v_mul_lo_u16 v9, v9, 43
	v_lshlrev_b64 v[6:7], 2, v[6:7]
	s_delay_alu instid0(VALU_DEP_2) | instskip(SKIP_1) | instid1(VALU_DEP_3)
	v_lshrrev_b16 v10, 15, v9
	v_lshrrev_b16 v9, 8, v9
	v_add_co_u32 v6, vcc_lo, v6, s4
	s_delay_alu instid0(VALU_DEP_4)
	v_add_co_ci_u32_e32 v7, vcc_lo, s5, v7, vcc_lo
	global_load_b32 v6, v[6:7], off
	v_add_nc_u16 v7, v9, v10
	s_waitcnt lgkmcnt(0)
	v_mad_u64_u32 v[10:11], null, 0xc0, v26, s[2:3]
	s_getpc_b64 s[2:3]
	s_add_u32 s2, s2, __const._ZN8rajaperf14hex_intsc_subzEPKdS1_iiRdS2_S2_S2_.cyc_nod@rel32@lo+4
	s_addc_u32 s3, s3, __const._ZN8rajaperf14hex_intsc_subzEPKdS1_iiRdS2_S2_S2_.cyc_nod@rel32@hi+12
	v_mul_lo_u16 v7, v7, 6
	s_delay_alu instid0(VALU_DEP_2) | instskip(NEXT) | instid1(VALU_DEP_2)
	v_add_nc_u32_e32 v11, v21, v11
	v_sub_nc_u16 v7, v8, v7
	s_delay_alu instid0(VALU_DEP_1) | instskip(NEXT) | instid1(VALU_DEP_1)
	v_bfe_i32 v7, v7, 0, 8
	v_ashrrev_i32_e32 v8, 31, v7
	s_delay_alu instid0(VALU_DEP_1) | instskip(NEXT) | instid1(VALU_DEP_1)
	v_lshlrev_b64 v[7:8], 2, v[7:8]
	v_add_co_u32 v7, vcc_lo, v7, s4
	s_delay_alu instid0(VALU_DEP_2) | instskip(SKIP_4) | instid1(VALU_DEP_1)
	v_add_co_ci_u32_e32 v8, vcc_lo, s5, v8, vcc_lo
	s_mov_b32 s4, 0
	global_load_b32 v8, v[7:8], off
	s_waitcnt vmcnt(1)
	v_ashrrev_i32_e32 v7, 31, v6
	v_lshlrev_b64 v[6:7], 3, v[6:7]
	s_delay_alu instid0(VALU_DEP_1) | instskip(NEXT) | instid1(VALU_DEP_2)
	v_add_co_u32 v6, vcc_lo, v10, v6
	v_add_co_ci_u32_e32 v7, vcc_lo, v11, v7, vcc_lo
	s_clause 0x3
	global_load_b64 v[54:55], v[10:11], off
	global_load_b128 v[44:47], v[10:11], off offset:56
	global_load_b128 v[56:59], v[10:11], off offset:120
	global_load_b64 v[12:13], v[6:7], off
	s_waitcnt vmcnt(4)
	v_ashrrev_i32_e32 v9, 31, v8
	s_delay_alu instid0(VALU_DEP_1) | instskip(NEXT) | instid1(VALU_DEP_1)
	v_lshlrev_b64 v[8:9], 3, v[8:9]
	v_add_co_u32 v8, vcc_lo, v10, v8
	s_delay_alu instid0(VALU_DEP_2)
	v_add_co_ci_u32_e32 v9, vcc_lo, v11, v9, vcc_lo
	s_clause 0x5
	global_load_b64 v[14:15], v[8:9], off offset:64
	global_load_b64 v[16:17], v[8:9], off offset:128
	;; [unrolled: 1-line block ×3, first 2 shown]
	global_load_b64 v[8:9], v[8:9], off
	global_load_b64 v[18:19], v[6:7], off offset:64
	global_load_b64 v[6:7], v[6:7], off offset:128
	v_add_co_u32 v2, vcc_lo, v2, s2
	v_add_co_ci_u32_e32 v3, vcc_lo, s3, v3, vcc_lo
	v_add_co_u32 v0, vcc_lo, v0, s2
	v_add_co_ci_u32_e32 v1, vcc_lo, s3, v1, vcc_lo
	s_clause 0x1
	global_load_b32 v20, v[2:3], off
	global_load_b32 v22, v[0:1], off
	s_movk_i32 s2, 0x1004
	scratch_store_b64 off, v[26:27], s2     ; 8-byte Folded Spill
	s_waitcnt vmcnt(10)
	v_add_f64 v[66:67], v[44:45], -v[54:55]
	s_waitcnt vmcnt(9)
	v_add_f64 v[56:57], v[56:57], -v[46:47]
	;; [unrolled: 2-line block ×4, first 2 shown]
	s_delay_alu instid0(VALU_DEP_2)
	v_mul_f64 v[24:25], v[68:69], v[56:57]
	s_waitcnt vmcnt(6)
	v_add_f64 v[62:63], v[16:17], -v[58:59]
	s_waitcnt vmcnt(5)
	v_add_f64 v[50:51], v[10:11], -v[58:59]
	;; [unrolled: 2-line block ×5, first 2 shown]
	v_mad_u64_u32 v[10:11], null, 0xc0, v26, s[0:1]
	s_mov_b32 s0, 0xe48e0530
	s_mov_b32 s1, 0x2b2bff2e
	s_delay_alu instid0(VALU_DEP_1) | instskip(NEXT) | instid1(VALU_DEP_2)
	v_add_nc_u32_e32 v15, v21, v11
	v_add_co_u32 v4, vcc_lo, v10, v4
	s_waitcnt vmcnt(1)
	v_ashrrev_i32_e32 v21, 31, v20
	s_waitcnt vmcnt(0)
	v_ashrrev_i32_e32 v23, 31, v22
	v_add_co_ci_u32_e32 v5, vcc_lo, v15, v5, vcc_lo
	s_delay_alu instid0(VALU_DEP_2)
	v_lshlrev_b64 v[13:14], 3, v[22:23]
	global_load_b64 v[11:12], v[4:5], off offset:64
	v_mul_f64 v[0:1], v[68:69], v[60:61]
	v_mul_f64 v[26:27], v[60:61], v[66:67]
	v_mul_f64 v[2:3], v[62:63], v[24:25]
	v_mul_f64 v[6:7], v[64:65], v[56:57]
	v_fma_f64 v[24:25], v[72:73], v[66:67], -v[24:25]
	s_delay_alu instid0(VALU_DEP_3) | instskip(SKIP_1) | instid1(VALU_DEP_2)
	v_fma_f64 v[8:9], v[0:1], v[50:51], -v[2:3]
	v_mul_f64 v[2:3], v[72:73], v[64:65]
	v_fma_f64 v[6:7], v[70:71], v[6:7], v[8:9]
	v_mul_f64 v[8:9], v[72:73], v[66:67]
	s_delay_alu instid0(VALU_DEP_2) | instskip(NEXT) | instid1(VALU_DEP_1)
	v_fma_f64 v[6:7], -v[2:3], v[50:51], v[6:7]
	v_fma_f64 v[6:7], v[62:63], v[8:9], v[6:7]
	v_lshlrev_b64 v[8:9], 3, v[20:21]
	s_delay_alu instid0(VALU_DEP_1) | instskip(NEXT) | instid1(VALU_DEP_2)
	v_add_co_u32 v8, vcc_lo, v10, v8
	v_add_co_ci_u32_e32 v9, vcc_lo, v15, v9, vcc_lo
	v_add_co_u32 v13, vcc_lo, v10, v13
	v_add_co_ci_u32_e32 v14, vcc_lo, v15, v14, vcc_lo
	s_clause 0x7
	global_load_b64 v[15:16], v[8:9], off offset:64
	global_load_b64 v[17:18], v[13:14], off offset:64
	global_load_b64 v[22:23], v[4:5], off offset:128
	global_load_b64 v[4:5], v[4:5], off
	global_load_b64 v[19:20], v[8:9], off
	;; [unrolled: 1-line block ×3, first 2 shown]
	global_load_b64 v[32:33], v[8:9], off offset:128
	global_load_b64 v[34:35], v[13:14], off offset:128
	v_mul_f64 v[13:14], v[64:65], v[50:51]
	v_fma_f64 v[74:75], -v[70:71], v[26:27], v[6:7]
	v_fma_f64 v[26:27], v[64:65], v[56:57], -v[26:27]
	s_delay_alu instid0(VALU_DEP_3) | instskip(NEXT) | instid1(VALU_DEP_3)
	v_fma_f64 v[42:43], v[62:63], v[66:67], -v[13:14]
	v_fma_f64 v[30:31], v[74:75], v[74:75], s[0:1]
	s_movk_i32 s0, 0x1014
	s_delay_alu instid0(VALU_DEP_1) | instskip(SKIP_1) | instid1(VALU_DEP_2)
	v_div_scale_f64 v[36:37], null, v[30:31], v[30:31], v[74:75]
	v_div_scale_f64 v[38:39], vcc_lo, v[74:75], v[30:31], v[74:75]
	v_rcp_f64_e32 v[6:7], v[36:37]
	s_waitcnt_depctr 0xfff
	v_fma_f64 v[8:9], -v[36:37], v[6:7], 1.0
	s_delay_alu instid0(VALU_DEP_1) | instskip(NEXT) | instid1(VALU_DEP_1)
	v_fma_f64 v[6:7], v[6:7], v[8:9], v[6:7]
	v_fma_f64 v[8:9], -v[36:37], v[6:7], 1.0
	s_delay_alu instid0(VALU_DEP_1)
	v_fma_f64 v[40:41], v[6:7], v[8:9], v[6:7]
	s_waitcnt vmcnt(8)
	v_add_f64 v[6:7], v[11:12], -v[46:47]
	v_mul_f64 v[10:11], v[62:63], v[56:57]
	v_mul_f64 v[8:9], v[70:71], v[66:67]
	v_dual_mov_b32 v12, v46 :: v_dual_mov_b32 v13, v47
	s_waitcnt vmcnt(7)
	v_add_f64 v[14:15], v[15:16], -v[46:47]
	s_waitcnt vmcnt(4)
	v_add_f64 v[4:5], v[4:5], -v[54:55]
	;; [unrolled: 2-line block ×3, first 2 shown]
	v_mul_f64 v[44:45], v[38:39], v[40:41]
	v_mul_f64 v[52:53], v[6:7], v[42:43]
	scratch_store_b128 off, v[10:13], s0    ; 16-byte Folded Spill
	v_add_f64 v[12:13], v[17:18], -v[46:47]
	s_movk_i32 s0, 0x103c
	v_mul_f64 v[46:47], v[72:73], v[50:51]
	v_fma_f64 v[48:49], v[68:69], v[50:51], -v[8:9]
	scratch_store_b64 off, v[50:51], s0     ; 8-byte Folded Spill
	v_fma_f64 v[50:51], v[60:61], v[50:51], -v[10:11]
	s_waitcnt vmcnt(2)
	v_add_f64 v[8:9], v[28:29], -v[54:55]
	v_dual_mov_b32 v16, v58 :: v_dual_mov_b32 v17, v59
	s_movk_i32 s0, 0x100c
	v_add_f64 v[10:11], v[22:23], -v[58:59]
	scratch_store_b64 off, v[54:55], s0     ; 8-byte Folded Spill
	s_movk_i32 s0, 0x1024
	s_waitcnt vmcnt(1)
	v_add_f64 v[18:19], v[32:33], -v[58:59]
	scratch_store_b128 off, v[14:17], s0    ; 16-byte Folded Spill
	s_waitcnt vmcnt(0)
	v_add_f64 v[16:17], v[34:35], -v[58:59]
	s_movk_i32 s0, 0x1034
	scratch_store_b64 off, v[56:57], s0     ; 8-byte Folded Spill
	s_movk_i32 s0, 0x105c
	scratch_store_b64 off, v[66:67], s0     ; 8-byte Folded Spill
	v_fma_f64 v[28:29], -v[36:37], v[44:45], v[38:39]
	v_mul_f64 v[36:37], v[14:15], v[42:43]
	s_movk_i32 s0, 0x107c
	v_mul_f64 v[38:39], v[12:13], v[42:43]
	scratch_store_b64 off, v[74:75], s0     ; 8-byte Folded Spill
	v_fma_f64 v[22:23], v[70:71], v[56:57], -v[46:47]
	v_mul_f64 v[32:33], v[6:7], v[48:49]
	v_mul_f64 v[34:35], v[14:15], v[48:49]
	;; [unrolled: 1-line block ×3, first 2 shown]
	v_fma_f64 v[46:47], v[4:5], v[50:51], v[52:53]
	v_div_fmas_f64 v[28:29], v[28:29], v[40:41], v[44:45]
	v_fma_f64 v[36:37], v[20:21], v[50:51], v[36:37]
	v_fma_f64 v[38:39], v[8:9], v[50:51], v[38:39]
	;; [unrolled: 1-line block ×6, first 2 shown]
	v_div_fixup_f64 v[22:23], v[28:29], v[30:31], v[74:75]
	v_fma_f64 v[28:29], v[18:19], v[26:27], v[36:37]
	v_fma_f64 v[26:27], v[16:17], v[26:27], v[38:39]
	;; [unrolled: 1-line block ×5, first 2 shown]
	v_fma_f64 v[24:25], -v[42:43], v[22:23], 1.0
	v_fma_f64 v[36:37], -v[28:29], v[22:23], 1.0
	v_mul_f64 v[248:249], v[42:43], v[22:23]
	v_fma_f64 v[38:39], -v[26:27], v[22:23], 1.0
	v_mul_f64 v[26:27], v[26:27], v[22:23]
	v_mul_f64 v[246:247], v[28:29], v[22:23]
	;; [unrolled: 1-line block ×5, first 2 shown]
	v_dual_mov_b32 v29, 5 :: v_dual_mov_b32 v28, 0
	v_fma_f64 v[44:45], -v[30:31], v[22:23], v[24:25]
	v_fma_f64 v[46:47], -v[32:33], v[22:23], v[36:37]
	v_mov_b32_e32 v31, 7
	v_fma_f64 v[24:25], -v[34:35], v[22:23], v[38:39]
	scratch_store_b64 off, v[26:27], off offset:4084 ; 8-byte Folded Spill
	v_dual_mov_b32 v33, 3 :: v_dual_mov_b32 v32, 8
	v_add_nc_u32_e64 v34, 16, 40
	v_mov_b32_e32 v30, 6
	s_clause 0x1
	scratch_store_b128 off, v[44:47], off offset:16
	scratch_store_b64 off, v[24:25], off offset:32
	v_dual_mov_b32 v26, v44 :: v_dual_mov_b32 v27, v45
	s_clause 0x3
	scratch_store_b128 off, v[228:231], off offset:56
	scratch_store_b128 off, v[29:32], off offset:72
	scratch_store_b32 off, v230, off offset:88
	scratch_store_b32 off, v33, off offset:100
	s_set_inst_prefetch_distance 0x1
	.p2align	6
.LBB2_7:                                ; =>This Inner Loop Header: Depth=1
	v_lshl_add_u32 v29, v28, 2, v34
	v_cmp_le_f64_e32 vcc_lo, 0, v[26:27]
	v_cmp_gt_f64_e64 s1, 0, v[26:27]
	scratch_load_b32 v31, v29, off
	s_waitcnt vmcnt(0)
	v_max_i32_e32 v32, 0, v31
	v_cmp_gt_i32_e64 s3, 0, v31
	s_delay_alu instid0(VALU_DEP_2)
	v_lshl_add_u32 v29, v32, 3, 16
	scratch_load_b64 v[29:30], v29, off
	s_waitcnt vmcnt(0)
	v_cmp_gt_f64_e64 s0, 0, v[29:30]
	v_cmp_le_f64_e64 s2, 0, v[29:30]
	v_dual_mov_b32 v26, v29 :: v_dual_mov_b32 v27, v30
	s_delay_alu instid0(VALU_DEP_3) | instskip(NEXT) | instid1(VALU_DEP_2)
	s_and_b32 vcc_lo, vcc_lo, s0
	s_and_b32 s0, s1, s2
	v_cndmask_b32_e32 v238, v238, v32, vcc_lo
	v_cndmask_b32_e64 v233, v233, v32, s0
	s_or_b32 s4, s3, s4
	v_cndmask_b32_e32 v230, v230, v28, vcc_lo
	v_cndmask_b32_e64 v232, v232, v28, s0
	v_mov_b32_e32 v28, v31
	s_and_not1_b32 s0, s15, exec_lo
	s_and_b32 s1, s1, exec_lo
	s_delay_alu instid0(SALU_CYCLE_1)
	s_or_b32 s15, s0, s1
	s_and_not1_b32 exec_lo, exec_lo, s4
	s_cbranch_execnz .LBB2_7
; %bb.8:
	s_set_inst_prefetch_distance 0x2
	s_or_b32 exec_lo, exec_lo, s4
	v_mul_f64 v[26:27], v[68:69], v[62:63]
	v_mul_f64 v[28:29], v[70:71], v[60:61]
	v_add_f64 v[0:1], v[0:1], -v[2:3]
	s_movk_i32 s0, 0x1064
	v_mov_b32_e32 v231, -1
	scratch_store_b64 off, v[68:69], s0     ; 8-byte Folded Spill
	s_movk_i32 s0, 0x1044
	v_mov_b32_e32 v239, -1
	scratch_store_b64 off, v[60:61], s0     ; 8-byte Folded Spill
	s_movk_i32 s0, 0x1054
	v_dual_mov_b32 v61, v45 :: v_dual_mov_b32 v60, v44
	scratch_store_b64 off, v[64:65], s0     ; 8-byte Folded Spill
	s_movk_i32 s0, 0x106c
	scratch_store_b64 off, v[70:71], s0     ; 8-byte Folded Spill
	s_movk_i32 s0, 0x104c
	;; [unrolled: 2-line block ×3, first 2 shown]
	scratch_store_b64 off, v[72:73], s0     ; 8-byte Folded Spill
	v_cmp_lt_i32_e64 s0, -1, v230
	v_fma_f64 v[26:27], v[70:71], v[64:65], -v[26:27]
	v_fma_f64 v[28:29], v[72:73], v[62:63], -v[28:29]
	v_mov_b32_e32 v62, -1
	s_delay_alu instid0(VALU_DEP_3) | instskip(SKIP_2) | instid1(VALU_DEP_3)
	v_mul_f64 v[14:15], v[14:15], v[26:27]
	v_mul_f64 v[6:7], v[6:7], v[26:27]
	;; [unrolled: 1-line block ×3, first 2 shown]
	v_fma_f64 v[2:3], v[20:21], v[28:29], v[14:15]
	s_delay_alu instid0(VALU_DEP_3) | instskip(NEXT) | instid1(VALU_DEP_3)
	v_fma_f64 v[4:5], v[4:5], v[28:29], v[6:7]
	v_fma_f64 v[6:7], v[8:9], v[28:29], v[12:13]
	s_delay_alu instid0(VALU_DEP_3) | instskip(NEXT) | instid1(VALU_DEP_3)
	v_fma_f64 v[2:3], v[18:19], v[0:1], v[2:3]
	;; [unrolled: 3-line block ×3, first 2 shown]
	v_mul_f64 v[242:243], v[2:3], v[22:23]
	s_delay_alu instid0(VALU_DEP_3) | instskip(NEXT) | instid1(VALU_DEP_3)
	v_mul_f64 v[252:253], v[4:5], v[22:23]
	v_mul_f64 v[228:229], v[0:1], v[22:23]
	v_fma_f64 v[236:237], -v[4:5], v[22:23], v[44:45]
	v_fma_f64 v[234:235], -v[2:3], v[22:23], v[46:47]
	;; [unrolled: 1-line block ×3, first 2 shown]
	s_mov_b32 s16, exec_lo
                                        ; implicit-def: $vgpr0_vgpr1_vgpr2_vgpr3_vgpr4_vgpr5_vgpr6_vgpr7_vgpr8_vgpr9_vgpr10_vgpr11_vgpr12_vgpr13_vgpr14_vgpr15_vgpr16_vgpr17_vgpr18_vgpr19_vgpr20_vgpr21_vgpr22_vgpr23_vgpr24_vgpr25_vgpr26_vgpr27_vgpr28_vgpr29_vgpr30_vgpr31
                                        ; kill: killed $vgpr0_vgpr1_vgpr2_vgpr3_vgpr4_vgpr5_vgpr6_vgpr7_vgpr8_vgpr9_vgpr10_vgpr11_vgpr12_vgpr13_vgpr14_vgpr15_vgpr16_vgpr17_vgpr18_vgpr19_vgpr20_vgpr21_vgpr22_vgpr23_vgpr24_vgpr25_vgpr26_vgpr27_vgpr28_vgpr29_vgpr30_vgpr31
                                        ; implicit-def: $vgpr74_vgpr75_vgpr76_vgpr77_vgpr78_vgpr79_vgpr80_vgpr81_vgpr82_vgpr83_vgpr84_vgpr85_vgpr86_vgpr87_vgpr88_vgpr89_vgpr90_vgpr91_vgpr92_vgpr93_vgpr94_vgpr95_vgpr96_vgpr97_vgpr98_vgpr99_vgpr100_vgpr101_vgpr102_vgpr103_vgpr104_vgpr105
	s_delay_alu instid0(SALU_CYCLE_1) | instskip(NEXT) | instid1(SALU_CYCLE_1)
	s_and_b32 s1, s16, s0
                                        ; implicit-def: $vgpr0_vgpr1_vgpr2_vgpr3_vgpr4_vgpr5_vgpr6_vgpr7_vgpr8_vgpr9_vgpr10_vgpr11_vgpr12_vgpr13_vgpr14_vgpr15_vgpr16_vgpr17_vgpr18_vgpr19_vgpr20_vgpr21_vgpr22_vgpr23_vgpr24_vgpr25_vgpr26_vgpr27_vgpr28_vgpr29_vgpr30_vgpr31
                                        ; kill: killed $vgpr0_vgpr1_vgpr2_vgpr3_vgpr4_vgpr5_vgpr6_vgpr7_vgpr8_vgpr9_vgpr10_vgpr11_vgpr12_vgpr13_vgpr14_vgpr15_vgpr16_vgpr17_vgpr18_vgpr19_vgpr20_vgpr21_vgpr22_vgpr23_vgpr24_vgpr25_vgpr26_vgpr27_vgpr28_vgpr29_vgpr30_vgpr31
                                        ; implicit-def: $vgpr84_vgpr85_vgpr86_vgpr87_vgpr88_vgpr89_vgpr90_vgpr91_vgpr92_vgpr93_vgpr94_vgpr95_vgpr96_vgpr97_vgpr98_vgpr99_vgpr100_vgpr101_vgpr102_vgpr103_vgpr104_vgpr105_vgpr106_vgpr107_vgpr108_vgpr109_vgpr110_vgpr111_vgpr112_vgpr113_vgpr114_vgpr115
                                        ; implicit-def: $vgpr176_vgpr177_vgpr178_vgpr179_vgpr180_vgpr181_vgpr182_vgpr183_vgpr184_vgpr185_vgpr186_vgpr187_vgpr188_vgpr189_vgpr190_vgpr191_vgpr192_vgpr193_vgpr194_vgpr195_vgpr196_vgpr197_vgpr198_vgpr199_vgpr200_vgpr201_vgpr202_vgpr203_vgpr204_vgpr205_vgpr206_vgpr207
                                        ; implicit-def: $vgpr144_vgpr145_vgpr146_vgpr147_vgpr148_vgpr149_vgpr150_vgpr151_vgpr152_vgpr153_vgpr154_vgpr155_vgpr156_vgpr157_vgpr158_vgpr159_vgpr160_vgpr161_vgpr162_vgpr163_vgpr164_vgpr165_vgpr166_vgpr167_vgpr168_vgpr169_vgpr170_vgpr171_vgpr172_vgpr173_vgpr174_vgpr175
                                        ; implicit-def: $vgpr184_vgpr185_vgpr186_vgpr187_vgpr188_vgpr189_vgpr190_vgpr191_vgpr192_vgpr193_vgpr194_vgpr195_vgpr196_vgpr197_vgpr198_vgpr199_vgpr200_vgpr201_vgpr202_vgpr203_vgpr204_vgpr205_vgpr206_vgpr207_vgpr208_vgpr209_vgpr210_vgpr211_vgpr212_vgpr213_vgpr214_vgpr215
                                        ; implicit-def: $vgpr0_vgpr1_vgpr2_vgpr3_vgpr4_vgpr5_vgpr6_vgpr7_vgpr8_vgpr9_vgpr10_vgpr11_vgpr12_vgpr13_vgpr14_vgpr15_vgpr16_vgpr17_vgpr18_vgpr19_vgpr20_vgpr21_vgpr22_vgpr23_vgpr24_vgpr25_vgpr26_vgpr27_vgpr28_vgpr29_vgpr30_vgpr31
                                        ; kill: killed $vgpr0_vgpr1_vgpr2_vgpr3_vgpr4_vgpr5_vgpr6_vgpr7_vgpr8_vgpr9_vgpr10_vgpr11_vgpr12_vgpr13_vgpr14_vgpr15_vgpr16_vgpr17_vgpr18_vgpr19_vgpr20_vgpr21_vgpr22_vgpr23_vgpr24_vgpr25_vgpr26_vgpr27_vgpr28_vgpr29_vgpr30_vgpr31
                                        ; implicit-def: $vgpr110_vgpr111_vgpr112_vgpr113_vgpr114_vgpr115_vgpr116_vgpr117_vgpr118_vgpr119_vgpr120_vgpr121_vgpr122_vgpr123_vgpr124_vgpr125_vgpr126_vgpr127_vgpr128_vgpr129_vgpr130_vgpr131_vgpr132_vgpr133_vgpr134_vgpr135_vgpr136_vgpr137_vgpr138_vgpr139_vgpr140_vgpr141
                                        ; implicit-def: $vgpr194_vgpr195_vgpr196_vgpr197_vgpr198_vgpr199_vgpr200_vgpr201_vgpr202_vgpr203_vgpr204_vgpr205_vgpr206_vgpr207_vgpr208_vgpr209_vgpr210_vgpr211_vgpr212_vgpr213_vgpr214_vgpr215_vgpr216_vgpr217_vgpr218_vgpr219_vgpr220_vgpr221_vgpr222_vgpr223_vgpr224_vgpr225
                                        ; implicit-def: $vgpr0_vgpr1_vgpr2_vgpr3_vgpr4_vgpr5_vgpr6_vgpr7_vgpr8_vgpr9_vgpr10_vgpr11_vgpr12_vgpr13_vgpr14_vgpr15_vgpr16_vgpr17_vgpr18_vgpr19_vgpr20_vgpr21_vgpr22_vgpr23_vgpr24_vgpr25_vgpr26_vgpr27_vgpr28_vgpr29_vgpr30_vgpr31
                                        ; kill: killed $vgpr0_vgpr1_vgpr2_vgpr3_vgpr4_vgpr5_vgpr6_vgpr7_vgpr8_vgpr9_vgpr10_vgpr11_vgpr12_vgpr13_vgpr14_vgpr15_vgpr16_vgpr17_vgpr18_vgpr19_vgpr20_vgpr21_vgpr22_vgpr23_vgpr24_vgpr25_vgpr26_vgpr27_vgpr28_vgpr29_vgpr30_vgpr31
                                        ; implicit-def: $vgpr118_vgpr119_vgpr120_vgpr121_vgpr122_vgpr123_vgpr124_vgpr125_vgpr126_vgpr127_vgpr128_vgpr129_vgpr130_vgpr131_vgpr132_vgpr133_vgpr134_vgpr135_vgpr136_vgpr137_vgpr138_vgpr139_vgpr140_vgpr141_vgpr142_vgpr143_vgpr144_vgpr145_vgpr146_vgpr147_vgpr148_vgpr149
                                        ; implicit-def: $vgpr0_vgpr1_vgpr2_vgpr3_vgpr4_vgpr5_vgpr6_vgpr7_vgpr8_vgpr9_vgpr10_vgpr11_vgpr12_vgpr13_vgpr14_vgpr15_vgpr16_vgpr17_vgpr18_vgpr19_vgpr20_vgpr21_vgpr22_vgpr23_vgpr24_vgpr25_vgpr26_vgpr27_vgpr28_vgpr29_vgpr30_vgpr31
                                        ; kill: killed $vgpr0_vgpr1_vgpr2_vgpr3_vgpr4_vgpr5_vgpr6_vgpr7_vgpr8_vgpr9_vgpr10_vgpr11_vgpr12_vgpr13_vgpr14_vgpr15_vgpr16_vgpr17_vgpr18_vgpr19_vgpr20_vgpr21_vgpr22_vgpr23_vgpr24_vgpr25_vgpr26_vgpr27_vgpr28_vgpr29_vgpr30_vgpr31
                                        ; implicit-def: $vgpr0_vgpr1_vgpr2_vgpr3_vgpr4_vgpr5_vgpr6_vgpr7_vgpr8_vgpr9_vgpr10_vgpr11_vgpr12_vgpr13_vgpr14_vgpr15_vgpr16_vgpr17_vgpr18_vgpr19_vgpr20_vgpr21_vgpr22_vgpr23_vgpr24_vgpr25_vgpr26_vgpr27_vgpr28_vgpr29_vgpr30_vgpr31
                                        ; kill: killed $vgpr0_vgpr1_vgpr2_vgpr3_vgpr4_vgpr5_vgpr6_vgpr7_vgpr8_vgpr9_vgpr10_vgpr11_vgpr12_vgpr13_vgpr14_vgpr15_vgpr16_vgpr17_vgpr18_vgpr19_vgpr20_vgpr21_vgpr22_vgpr23_vgpr24_vgpr25_vgpr26_vgpr27_vgpr28_vgpr29_vgpr30_vgpr31
	;; [unrolled: 2-line block ×5, first 2 shown]
                                        ; implicit-def: $vgpr28_vgpr29_vgpr30_vgpr31_vgpr32_vgpr33_vgpr34_vgpr35_vgpr36_vgpr37_vgpr38_vgpr39_vgpr40_vgpr41_vgpr42_vgpr43_vgpr44_vgpr45_vgpr46_vgpr47_vgpr48_vgpr49_vgpr50_vgpr51_vgpr52_vgpr53_vgpr54_vgpr55_vgpr56_vgpr57_vgpr58_vgpr59
                                        ; implicit-def: $vgpr0_vgpr1_vgpr2_vgpr3_vgpr4_vgpr5_vgpr6_vgpr7_vgpr8_vgpr9_vgpr10_vgpr11_vgpr12_vgpr13_vgpr14_vgpr15_vgpr16_vgpr17_vgpr18_vgpr19_vgpr20_vgpr21_vgpr22_vgpr23_vgpr24_vgpr25_vgpr26_vgpr27_vgpr28_vgpr29_vgpr30_vgpr31
                                        ; kill: killed $vgpr0_vgpr1_vgpr2_vgpr3_vgpr4_vgpr5_vgpr6_vgpr7_vgpr8_vgpr9_vgpr10_vgpr11_vgpr12_vgpr13_vgpr14_vgpr15_vgpr16_vgpr17_vgpr18_vgpr19_vgpr20_vgpr21_vgpr22_vgpr23_vgpr24_vgpr25_vgpr26_vgpr27_vgpr28_vgpr29_vgpr30_vgpr31
                                        ; implicit-def: $vgpr0_vgpr1_vgpr2_vgpr3_vgpr4_vgpr5_vgpr6_vgpr7_vgpr8_vgpr9_vgpr10_vgpr11_vgpr12_vgpr13_vgpr14_vgpr15_vgpr16_vgpr17_vgpr18_vgpr19_vgpr20_vgpr21_vgpr22_vgpr23_vgpr24_vgpr25_vgpr26_vgpr27_vgpr28_vgpr29_vgpr30_vgpr31
                                        ; kill: killed $vgpr0_vgpr1_vgpr2_vgpr3_vgpr4_vgpr5_vgpr6_vgpr7_vgpr8_vgpr9_vgpr10_vgpr11_vgpr12_vgpr13_vgpr14_vgpr15_vgpr16_vgpr17_vgpr18_vgpr19_vgpr20_vgpr21_vgpr22_vgpr23_vgpr24_vgpr25_vgpr26_vgpr27_vgpr28_vgpr29_vgpr30_vgpr31
	;; [unrolled: 2-line block ×22, first 2 shown]
	s_mov_b32 exec_lo, s1
	s_cbranch_execz .LBB2_10
; %bb.9:
	v_lshl_add_u32 v0, v238, 3, 16
	v_lshl_add_u32 v2, v230, 3, 16
	;; [unrolled: 1-line block ×4, first 2 shown]
	v_cmp_eq_u32_e64 s1, 1, v238
	s_clause 0x3
	scratch_load_b64 v[0:1], v0, off
	scratch_load_b64 v[2:3], v2, off
	;; [unrolled: 1-line block ×4, first 2 shown]
	scratch_load_b64 v[44:45], off, off offset:4084 ; 8-byte Folded Reload
	v_cmp_eq_u32_e64 s3, 2, v230
	v_cmp_eq_u32_e64 s2, 2, v238
	;; [unrolled: 1-line block ×3, first 2 shown]
	v_cndmask_b32_e64 v26, v244, v240, s1
	v_cmp_eq_u32_e64 s5, 3, v238
	v_cndmask_b32_e64 v22, v248, v246, s1
	v_cndmask_b32_e64 v25, v245, v241, s1
	;; [unrolled: 1-line block ×13, first 2 shown]
	v_cmp_eq_u32_e64 s6, 4, v238
	v_cmp_eq_u32_e64 s7, 5, v238
	;; [unrolled: 1-line block ×9, first 2 shown]
                                        ; implicit-def: $vgpr84_vgpr85_vgpr86_vgpr87_vgpr88_vgpr89_vgpr90_vgpr91_vgpr92_vgpr93_vgpr94_vgpr95_vgpr96_vgpr97_vgpr98_vgpr99_vgpr100_vgpr101_vgpr102_vgpr103_vgpr104_vgpr105_vgpr106_vgpr107_vgpr108_vgpr109_vgpr110_vgpr111_vgpr112_vgpr113_vgpr114_vgpr115
                                        ; implicit-def: $vgpr144_vgpr145_vgpr146_vgpr147_vgpr148_vgpr149_vgpr150_vgpr151_vgpr152_vgpr153_vgpr154_vgpr155_vgpr156_vgpr157_vgpr158_vgpr159_vgpr160_vgpr161_vgpr162_vgpr163_vgpr164_vgpr165_vgpr166_vgpr167_vgpr168_vgpr169_vgpr170_vgpr171_vgpr172_vgpr173_vgpr174_vgpr175
	v_mov_b32_e32 v239, 3
	v_mov_b32_e32 v231, 4
	s_waitcnt vmcnt(4)
	v_add_f64 v[8:9], -v[0:1], 0
	s_waitcnt vmcnt(3)
	v_add_f64 v[10:11], v[2:3], -v[0:1]
	s_waitcnt vmcnt(2)
	v_add_f64 v[0:1], -v[4:5], 0
	s_waitcnt vmcnt(1)
	v_add_f64 v[2:3], v[6:7], -v[4:5]
	s_delay_alu instid0(VALU_DEP_3) | instskip(NEXT) | instid1(VALU_DEP_2)
	v_div_scale_f64 v[12:13], null, v[10:11], v[10:11], v[8:9]
	v_div_scale_f64 v[6:7], null, v[2:3], v[2:3], v[0:1]
	v_div_scale_f64 v[18:19], vcc_lo, v[8:9], v[10:11], v[8:9]
	s_delay_alu instid0(VALU_DEP_3) | instskip(SKIP_2) | instid1(VALU_DEP_1)
	v_rcp_f64_e32 v[14:15], v[12:13]
	s_waitcnt_depctr 0xfff
	v_fma_f64 v[16:17], -v[12:13], v[14:15], 1.0
	v_fma_f64 v[4:5], v[14:15], v[16:17], v[14:15]
	v_rcp_f64_e32 v[16:17], v[6:7]
	s_delay_alu instid0(VALU_DEP_1) | instskip(NEXT) | instid1(VALU_DEP_1)
	v_fma_f64 v[14:15], -v[12:13], v[4:5], 1.0
	v_fma_f64 v[4:5], v[4:5], v[14:15], v[4:5]
	s_waitcnt_depctr 0xfff
	v_fma_f64 v[14:15], -v[6:7], v[16:17], 1.0
	v_mul_f64 v[20:21], v[18:19], v[4:5]
	s_delay_alu instid0(VALU_DEP_2) | instskip(NEXT) | instid1(VALU_DEP_2)
	v_fma_f64 v[14:15], v[16:17], v[14:15], v[16:17]
	v_fma_f64 v[12:13], -v[12:13], v[20:21], v[18:19]
	s_delay_alu instid0(VALU_DEP_2) | instskip(SKIP_2) | instid1(VALU_DEP_4)
	v_fma_f64 v[16:17], -v[6:7], v[14:15], 1.0
	v_cndmask_b32_e64 v18, v249, v247, s4
	v_cmp_eq_u32_e64 s4, 3, v230
	v_div_fmas_f64 v[4:5], v[12:13], v[4:5], v[20:21]
	v_cmp_eq_u32_e32 vcc_lo, 1, v230
	v_cndmask_b32_e64 v13, v249, v247, s1
	v_fma_f64 v[14:15], v[14:15], v[16:17], v[14:15]
	v_cmp_eq_u32_e64 s1, 2, v232
	v_cndmask_b32_e32 v12, v249, v247, vcc_lo
	v_dual_cndmask_b32 v20, v248, v246 :: v_dual_cndmask_b32 v23, v245, v241
	s_waitcnt vmcnt(0)
	v_cndmask_b32_e64 v21, v13, v45, s2
	v_dual_cndmask_b32 v24, v244, v240 :: v_dual_cndmask_b32 v27, v253, v243
	v_cndmask_b32_e64 v19, v12, v45, s3
	v_dual_cndmask_b32 v28, v252, v242 :: v_dual_cndmask_b32 v31, v237, v235
	v_cndmask_b32_e32 v32, v236, v234, vcc_lo
	v_div_scale_f64 v[12:13], vcc_lo, v[0:1], v[2:3], v[0:1]
	v_cndmask_b32_e64 v16, v23, v251, s3
	v_cndmask_b32_e64 v17, v24, v250, s3
	;; [unrolled: 1-line block ×5, first 2 shown]
	v_div_fixup_f64 v[4:5], v[4:5], v[10:11], v[8:9]
	v_cndmask_b32_e64 v8, v19, s0, s4
	v_cndmask_b32_e64 v9, v20, v44, s3
	;; [unrolled: 1-line block ×8, first 2 shown]
	v_cmp_eq_u32_e64 s3, 4, v230
	v_cndmask_b32_e64 v11, v22, v44, s2
	v_cndmask_b32_e64 v25, v9, s0, s4
	;; [unrolled: 1-line block ×6, first 2 shown]
	v_mul_f64 v[8:9], v[12:13], v[14:15]
	v_cndmask_b32_e64 v28, v33, v255, s2
	v_cndmask_b32_e64 v31, v16, s0, s4
	;; [unrolled: 1-line block ×21, first 2 shown]
	v_add_f64 v[10:11], -v[4:5], 1.0
	v_cndmask_b32_e64 v17, v20, s0, s10
	v_cndmask_b32_e64 v20, v21, s0, s9
	;; [unrolled: 1-line block ×9, first 2 shown]
	s_delay_alu instid0(VALU_DEP_2) | instskip(NEXT) | instid1(VALU_DEP_2)
	v_cndmask_b32_e64 v18, v18, s0, s8
	v_cndmask_b32_e64 v19, v19, s0, s8
	v_fma_f64 v[6:7], -v[6:7], v[8:9], v[12:13]
	s_delay_alu instid0(VALU_DEP_3) | instskip(NEXT) | instid1(VALU_DEP_3)
	v_cndmask_b32_e64 v23, v18, s0, s9
	v_cndmask_b32_e64 v29, v19, s0, s9
	;; [unrolled: 1-line block ×11, first 2 shown]
	s_delay_alu instid0(VALU_DEP_4) | instskip(NEXT) | instid1(VALU_DEP_4)
	v_cndmask_b32_e64 v23, v23, s0, s11
	v_cndmask_b32_e64 v24, v24, s0, s11
	s_delay_alu instid0(VALU_DEP_4) | instskip(NEXT) | instid1(VALU_DEP_4)
	v_cndmask_b32_e64 v22, v22, s0, s13
	v_cndmask_b32_e64 v25, v25, s0, s11
	;; [unrolled: 3-line block ×3, first 2 shown]
	v_mul_f64 v[12:13], v[16:17], v[10:11]
	v_mul_f64 v[16:17], v[18:19], v[10:11]
	;; [unrolled: 1-line block ×3, first 2 shown]
	v_cndmask_b32_e64 v20, v32, s0, s3
	v_cndmask_b32_e64 v21, v33, s0, s3
	v_cndmask_b32_e64 v25, v25, s0, s12
	s_delay_alu instid0(VALU_DEP_3) | instskip(NEXT) | instid1(VALU_DEP_3)
	v_cndmask_b32_e64 v20, v20, s0, s11
	v_cndmask_b32_e64 v21, v21, s0, s11
	s_delay_alu instid0(VALU_DEP_3) | instskip(NEXT) | instid1(VALU_DEP_3)
	v_cndmask_b32_e64 v30, v25, s0, s13
	v_cndmask_b32_e64 v20, v20, s0, s12
	s_delay_alu instid0(VALU_DEP_3)
	v_cndmask_b32_e64 v29, v21, s0, s12
	v_cndmask_b32_e64 v21, v22, s0, s14
	;; [unrolled: 1-line block ×5, first 2 shown]
	v_div_fmas_f64 v[8:9], v[6:7], v[14:15], v[8:9]
	v_cndmask_b32_e64 v14, v26, s0, s4
	v_cndmask_b32_e64 v20, v22, s0, s14
	;; [unrolled: 1-line block ×11, first 2 shown]
	v_cmp_eq_u32_e32 vcc_lo, 3, v232
	v_cndmask_b32_e64 v15, v15, s0, s11
	v_cmp_eq_u32_e64 s3, 6, v232
	v_cmp_eq_u32_e64 s4, 7, v232
	v_cndmask_b32_e64 v14, v14, s0, s12
	s_delay_alu instid0(VALU_DEP_4)
	v_cndmask_b32_e64 v15, v15, s0, s12
	v_fma_f64 v[6:7], v[20:21], v[4:5], v[12:13]
	v_cndmask_b32_e64 v12, v34, v254, s2
	v_cndmask_b32_e64 v13, v28, s0, s5
	v_fma_f64 v[29:30], v[22:23], v[4:5], v[16:17]
	v_cndmask_b32_e64 v14, v14, s0, s13
	v_cndmask_b32_e64 v23, v15, s0, s13
	;; [unrolled: 1-line block ×4, first 2 shown]
	v_fma_f64 v[116:117], v[24:25], v[4:5], v[18:19]
	v_cndmask_b32_e64 v15, v14, s0, s14
	v_cndmask_b32_e64 v14, v23, s0, s14
	;; [unrolled: 1-line block ×10, first 2 shown]
	v_div_fixup_f64 v[0:1], v[8:9], v[2:3], v[0:1]
	v_cndmask_b32_e64 v17, v37, v251, s1
	v_cndmask_b32_e64 v12, v12, s0, s8
	;; [unrolled: 1-line block ×5, first 2 shown]
	v_cmp_eq_u32_e64 s1, 4, v232
	v_cndmask_b32_e64 v12, v12, s0, s9
	v_cndmask_b32_e64 v13, v13, s0, s10
	v_cmp_eq_u32_e64 s2, 5, v232
	v_cmp_eq_u32_e64 s5, 8, v232
	;; [unrolled: 1-line block ×3, first 2 shown]
	v_cndmask_b32_e64 v12, v12, s0, s10
	v_cmp_eq_u32_e64 s7, 8, v233
	s_delay_alu instid0(VALU_DEP_2) | instskip(SKIP_3) | instid1(VALU_DEP_3)
	v_mul_f64 v[2:3], v[12:13], v[10:11]
	v_dual_cndmask_b32 v8, v35, v7 :: v_dual_cndmask_b32 v9, v16, v6
	v_dual_mov_b32 v35, v7 :: v_dual_cndmask_b32 v10, v17, v30
	v_cndmask_b32_e32 v11, v18, v29, vcc_lo
	v_cndmask_b32_e64 v9, v9, s0, s1
	v_cndmask_b32_e32 v13, v20, v116, vcc_lo
	v_cndmask_b32_e64 v8, v8, s0, s1
	v_cndmask_b32_e64 v10, v10, s0, s1
	;; [unrolled: 1-line block ×18, first 2 shown]
	s_delay_alu instid0(VALU_DEP_4) | instskip(NEXT) | instid1(VALU_DEP_4)
	v_cndmask_b32_e64 v18, v13, s0, s4
	v_cndmask_b32_e64 v9, v8, s0, s5
	;; [unrolled: 1-line block ×5, first 2 shown]
	v_dual_mov_b32 v16, v29 :: v_dual_mov_b32 v17, v30
	v_fma_f64 v[182:183], v[14:15], v[4:5], v[2:3]
	s_delay_alu instid0(VALU_DEP_1) | instskip(NEXT) | instid1(VALU_DEP_2)
	v_dual_cndmask_b32 v12, v19, v117 :: v_dual_cndmask_b32 v3, v22, v182
	v_cndmask_b32_e32 v2, v21, v183, vcc_lo
	s_delay_alu instid0(VALU_DEP_2)
	v_cndmask_b32_e64 v12, v12, s0, s1
	v_cmp_eq_u32_e32 vcc_lo, 1, v233
	v_mov_b32_e32 v34, v6
	v_cndmask_b32_e64 v3, v3, s0, s1
	v_cndmask_b32_e64 v2, v2, s0, s1
	;; [unrolled: 1-line block ×3, first 2 shown]
	v_cmp_eq_u32_e64 s1, 2, v233
	v_cndmask_b32_e32 v15, v244, v240, vcc_lo
	v_cndmask_b32_e64 v3, v3, s0, s2
	v_cndmask_b32_e64 v2, v2, s0, s2
	;; [unrolled: 1-line block ×3, first 2 shown]
	v_cmp_eq_u32_e64 s2, 3, v233
	v_cndmask_b32_e64 v15, v15, v250, s1
	v_cndmask_b32_e64 v3, v3, s0, s3
	v_cndmask_b32_e64 v2, v2, s0, s3
	v_cndmask_b32_e64 v12, v12, s0, s4
	v_cmp_eq_u32_e64 s3, 4, v233
	s_delay_alu instid0(VALU_DEP_4) | instskip(NEXT) | instid1(VALU_DEP_4)
	v_cndmask_b32_e64 v4, v3, s0, s4
	v_cndmask_b32_e64 v2, v2, s0, s4
	s_delay_alu instid0(VALU_DEP_4) | instskip(SKIP_2) | instid1(VALU_DEP_4)
	v_cndmask_b32_e64 v13, v12, s0, s5
	v_cndmask_b32_e64 v12, v18, s0, s5
	v_cmp_eq_u32_e64 s4, 5, v233
	v_cndmask_b32_e64 v3, v2, s0, s5
	v_cndmask_b32_e64 v2, v4, s0, s5
	v_add_f64 v[4:5], -v[0:1], 1.0
	v_cmp_eq_u32_e64 s5, 6, v233
	s_delay_alu instid0(VALU_DEP_2)
	v_mul_f64 v[8:9], v[4:5], v[8:9]
	v_mul_f64 v[10:11], v[4:5], v[10:11]
	;; [unrolled: 1-line block ×4, first 2 shown]
	v_dual_mov_b32 v4, 5 :: v_dual_cndmask_b32 v5, v248, v246
	scratch_store_b32 off, v4, off offset:100
	v_cndmask_b32_e32 v4, v249, v247, vcc_lo
	v_cndmask_b32_e64 v5, v5, v44, s1
	s_delay_alu instid0(VALU_DEP_2) | instskip(NEXT) | instid1(VALU_DEP_2)
	v_cndmask_b32_e64 v4, v4, v45, s1
	v_cndmask_b32_e64 v5, v5, v34, s2
	s_delay_alu instid0(VALU_DEP_2) | instskip(NEXT) | instid1(VALU_DEP_2)
	v_cndmask_b32_e64 v4, v4, v35, s2
	;; [unrolled: 3-line block ×5, first 2 shown]
	v_cndmask_b32_e64 v14, v5, s0, s6
	s_delay_alu instid0(VALU_DEP_2) | instskip(NEXT) | instid1(VALU_DEP_1)
	v_cndmask_b32_e64 v4, v4, s0, s6
	v_cndmask_b32_e64 v5, v4, s0, s7
	s_delay_alu instid0(VALU_DEP_3) | instskip(SKIP_1) | instid1(VALU_DEP_2)
	v_cndmask_b32_e64 v4, v14, s0, s7
	v_cndmask_b32_e32 v14, v245, v241, vcc_lo
	v_fma_f64 v[82:83], v[0:1], v[4:5], v[8:9]
	s_delay_alu instid0(VALU_DEP_2) | instskip(NEXT) | instid1(VALU_DEP_1)
	v_cndmask_b32_e64 v14, v14, v251, s1
	v_cndmask_b32_e64 v14, v14, v30, s2
	s_clause 0x7
	scratch_store_b128 off, v[10:13], off offset:880
	scratch_store_b128 off, v[14:17], off offset:896
	;; [unrolled: 1-line block ×8, first 2 shown]
	v_cndmask_b32_e32 v19, v236, v234, vcc_lo
	v_cndmask_b32_e32 v17, v252, v242, vcc_lo
	s_delay_alu instid0(VALU_DEP_2) | instskip(NEXT) | instid1(VALU_DEP_2)
	v_cndmask_b32_e64 v19, v19, v254, s1
	v_cndmask_b32_e64 v17, v17, v228, s1
	s_delay_alu instid0(VALU_DEP_2) | instskip(NEXT) | instid1(VALU_DEP_2)
	v_cndmask_b32_e64 v19, v19, v182, s2
	v_cndmask_b32_e64 v17, v17, v116, s2
	;; [unrolled: 3-line block ×6, first 2 shown]
	v_cndmask_b32_e64 v15, v15, v29, s2
	v_cndmask_b32_e64 v14, v14, s0, s3
	s_delay_alu instid0(VALU_DEP_2) | instskip(NEXT) | instid1(VALU_DEP_2)
	v_cndmask_b32_e64 v15, v15, s0, s3
	v_cndmask_b32_e64 v14, v14, s0, s4
	s_delay_alu instid0(VALU_DEP_2) | instskip(NEXT) | instid1(VALU_DEP_2)
	;; [unrolled: 3-line block ×4, first 2 shown]
	v_cndmask_b32_e64 v16, v15, s0, s6
	v_cndmask_b32_e64 v15, v14, s0, s7
	s_delay_alu instid0(VALU_DEP_2) | instskip(SKIP_1) | instid1(VALU_DEP_2)
	v_cndmask_b32_e64 v14, v16, s0, s7
	v_cndmask_b32_e32 v16, v253, v243, vcc_lo
	v_fma_f64 v[202:203], v[0:1], v[14:15], v[10:11]
	s_delay_alu instid0(VALU_DEP_2) | instskip(NEXT) | instid1(VALU_DEP_1)
	v_cndmask_b32_e64 v16, v16, v229, s1
	v_cndmask_b32_e64 v16, v16, v117, s2
	s_delay_alu instid0(VALU_DEP_1) | instskip(NEXT) | instid1(VALU_DEP_1)
	v_cndmask_b32_e64 v16, v16, s0, s3
	v_cndmask_b32_e64 v16, v16, s0, s4
	s_delay_alu instid0(VALU_DEP_1) | instskip(NEXT) | instid1(VALU_DEP_1)
	v_cndmask_b32_e64 v16, v16, s0, s5
	v_cndmask_b32_e64 v16, v16, s0, s6
	s_delay_alu instid0(VALU_DEP_1) | instskip(SKIP_2) | instid1(VALU_DEP_2)
	v_cndmask_b32_e64 v17, v16, s0, s7
	v_cndmask_b32_e64 v16, v18, s0, s7
	v_cndmask_b32_e32 v18, v237, v235, vcc_lo
	v_fma_f64 v[126:127], v[0:1], v[16:17], v[12:13]
	s_delay_alu instid0(VALU_DEP_2) | instskip(NEXT) | instid1(VALU_DEP_1)
	v_cndmask_b32_e64 v18, v18, v255, s1
	v_cndmask_b32_e64 v18, v18, v183, s2
	s_delay_alu instid0(VALU_DEP_1) | instskip(NEXT) | instid1(VALU_DEP_1)
	v_cndmask_b32_e64 v18, v18, s0, s3
	v_cndmask_b32_e64 v18, v18, s0, s4
	s_delay_alu instid0(VALU_DEP_1) | instskip(NEXT) | instid1(VALU_DEP_1)
	v_cndmask_b32_e64 v18, v18, s0, s5
	v_cndmask_b32_e64 v18, v18, s0, s6
	s_delay_alu instid0(VALU_DEP_1) | instskip(SKIP_1) | instid1(VALU_DEP_1)
	v_cndmask_b32_e64 v19, v18, s0, s7
	v_cndmask_b32_e64 v18, v20, s0, s7
	v_fma_f64 v[192:193], v[0:1], v[18:19], v[2:3]
                                        ; implicit-def: $vgpr0_vgpr1_vgpr2_vgpr3_vgpr4_vgpr5_vgpr6_vgpr7_vgpr8_vgpr9_vgpr10_vgpr11_vgpr12_vgpr13_vgpr14_vgpr15_vgpr16_vgpr17_vgpr18_vgpr19_vgpr20_vgpr21_vgpr22_vgpr23_vgpr24_vgpr25_vgpr26_vgpr27_vgpr28_vgpr29_vgpr30_vgpr31
                                        ; kill: killed $vgpr0_vgpr1_vgpr2_vgpr3_vgpr4_vgpr5_vgpr6_vgpr7_vgpr8_vgpr9_vgpr10_vgpr11_vgpr12_vgpr13_vgpr14_vgpr15_vgpr16_vgpr17_vgpr18_vgpr19_vgpr20_vgpr21_vgpr22_vgpr23_vgpr24_vgpr25_vgpr26_vgpr27_vgpr28_vgpr29_vgpr30_vgpr31
                                        ; implicit-def: $vgpr0_vgpr1_vgpr2_vgpr3_vgpr4_vgpr5_vgpr6_vgpr7_vgpr8_vgpr9_vgpr10_vgpr11_vgpr12_vgpr13_vgpr14_vgpr15_vgpr16_vgpr17_vgpr18_vgpr19_vgpr20_vgpr21_vgpr22_vgpr23_vgpr24_vgpr25_vgpr26_vgpr27_vgpr28_vgpr29_vgpr30_vgpr31
                                        ; kill: killed $vgpr0_vgpr1_vgpr2_vgpr3_vgpr4_vgpr5_vgpr6_vgpr7_vgpr8_vgpr9_vgpr10_vgpr11_vgpr12_vgpr13_vgpr14_vgpr15_vgpr16_vgpr17_vgpr18_vgpr19_vgpr20_vgpr21_vgpr22_vgpr23_vgpr24_vgpr25_vgpr26_vgpr27_vgpr28_vgpr29_vgpr30_vgpr31
	;; [unrolled: 2-line block ×30, first 2 shown]
.LBB2_10:
	s_or_b32 exec_lo, exec_lo, s16
	scratch_load_b64 v[108:109], off, off offset:4084 ; 8-byte Folded Reload
	v_mov_b32_e32 v0, 0
	s_mov_b32 s1, 0
	scratch_store_b32 off, v62, off offset:96
	s_set_inst_prefetch_distance 0x1
	s_branch .LBB2_12
	.p2align	6
.LBB2_11:                               ;   in Loop: Header=BB2_12 Depth=1
	s_or_b32 exec_lo, exec_lo, s3
	s_waitcnt vmcnt(0)
	v_cmp_gt_i32_e32 vcc_lo, 0, v1
	v_mov_b32_e32 v0, v1
	s_or_b32 s1, vcc_lo, s1
	s_delay_alu instid0(SALU_CYCLE_1)
	s_and_not1_b32 exec_lo, exec_lo, s1
	s_cbranch_execz .LBB2_18
.LBB2_12:                               ; =>This Inner Loop Header: Depth=1
	s_delay_alu instid0(VALU_DEP_1) | instskip(SKIP_2) | instid1(VALU_DEP_1)
	v_lshlrev_b32_e32 v1, 2, v0
	s_mov_b32 s2, 0
	s_mov_b32 s3, exec_lo
                                        ; implicit-def: $vgpr2
	v_add_nc_u32_e32 v3, 16, v1
	s_delay_alu instid0(VALU_DEP_1)
	v_add_nc_u32_e32 v1, v3, v1
	s_clause 0x1
	scratch_load_b64 v[4:5], v1, off
	scratch_load_b32 v1, v3, off offset:40
	s_waitcnt vmcnt(1)
	v_cmpx_ngt_f64_e32 0, v[4:5]
	s_xor_b32 s3, exec_lo, s3
	s_cbranch_execnz .LBB2_15
; %bb.13:                               ;   in Loop: Header=BB2_12 Depth=1
	s_and_not1_saveexec_b32 s3, s3
	s_cbranch_execnz .LBB2_16
.LBB2_14:                               ;   in Loop: Header=BB2_12 Depth=1
	s_or_b32 exec_lo, exec_lo, s3
	s_and_saveexec_b32 s3, s2
	s_cbranch_execz .LBB2_11
	s_branch .LBB2_17
.LBB2_15:                               ;   in Loop: Header=BB2_12 Depth=1
	scratch_load_b32 v2, off, off offset:96
                                        ; implicit-def: $vgpr3
	s_waitcnt vmcnt(0)
	v_cmp_eq_u32_e32 vcc_lo, -1, v2
	v_mov_b32_e32 v2, 0x60
	s_and_b32 s2, vcc_lo, exec_lo
	s_and_not1_saveexec_b32 s3, s3
	s_cbranch_execz .LBB2_14
.LBB2_16:                               ;   in Loop: Header=BB2_12 Depth=1
	scratch_load_b32 v4, off, off offset:100
	v_mov_b32_e32 v2, 0x64
	s_or_b32 s2, s2, exec_lo
	s_waitcnt vmcnt(0)
	scratch_store_b32 v3, v4, off offset:40
	s_or_b32 exec_lo, exec_lo, s3
	s_and_saveexec_b32 s3, s2
	s_cbranch_execz .LBB2_11
.LBB2_17:                               ;   in Loop: Header=BB2_12 Depth=1
	scratch_store_b32 v2, v0, off
	s_branch .LBB2_11
.LBB2_18:
	s_set_inst_prefetch_distance 0x2
	s_or_b32 exec_lo, exec_lo, s1
	s_and_saveexec_b32 s1, s0
; %bb.19:
	v_cmp_gt_f64_e32 vcc_lo, 0, v[60:61]
	v_lshlrev_b32_e32 v2, 2, v230
	v_lshlrev_b32_e32 v1, 2, v239
	;; [unrolled: 1-line block ×3, first 2 shown]
	s_delay_alu instid0(VALU_DEP_3) | instskip(NEXT) | instid1(VALU_DEP_3)
	v_add3_u32 v2, 16, v2, 40
	v_add3_u32 v1, 16, v1, 40
	s_delay_alu instid0(VALU_DEP_3) | instskip(SKIP_1) | instid1(SALU_CYCLE_1)
	v_add3_u32 v0, 16, v0, 40
	s_or_b32 s0, s15, vcc_lo
	v_cndmask_b32_e64 v3, v233, -1, s0
	s_clause 0x2
	scratch_store_b32 v2, v239, off
	scratch_store_b32 v1, v231, off
	;; [unrolled: 1-line block ×3, first 2 shown]
; %bb.20:
	s_or_b32 exec_lo, exec_lo, s1
	s_clause 0x8
	scratch_load_b32 v11, off, off offset:96
	scratch_load_b128 v[36:39], off, off offset:2416
	scratch_load_b128 v[40:43], off, off offset:2432
	;; [unrolled: 1-line block ×8, first 2 shown]
	v_mov_b32_e32 v4, -1
	v_dual_mov_b32 v5, -1 :: v_dual_mov_b32 v12, -1
	v_mov_b32_e32 v13, -1
	s_waitcnt vmcnt(8)
	v_cmp_eq_u32_e32 vcc_lo, 1, v11
	v_cmp_eq_u32_e64 s0, 2, v11
	v_dual_cndmask_b32 v0, v249, v247 :: v_dual_cndmask_b32 v1, v248, v246
	v_cmp_eq_u32_e32 vcc_lo, 3, v11
	s_delay_alu instid0(VALU_DEP_2) | instskip(NEXT) | instid1(VALU_DEP_3)
	v_cndmask_b32_e64 v0, v0, v109, s0
	v_cndmask_b32_e64 v1, v1, v108, s0
	v_cmp_lt_i32_e64 s0, -1, v11
	s_delay_alu instid0(VALU_DEP_2) | instskip(SKIP_1) | instid1(VALU_DEP_2)
	v_dual_cndmask_b32 v0, v0, v35 :: v_dual_cndmask_b32 v1, v1, v34
	v_cmp_eq_u32_e32 vcc_lo, 4, v11
	v_dual_cndmask_b32 v0, v0, v83 :: v_dual_cndmask_b32 v1, v1, v82
	v_cmp_eq_u32_e32 vcc_lo, 5, v11
	s_waitcnt vmcnt(5)
	s_delay_alu instid0(VALU_DEP_2)
	v_cndmask_b32_e32 v0, v0, v47, vcc_lo
	s_clause 0x7
	scratch_load_b128 v[36:39], off, off offset:2544
	scratch_load_b128 v[40:43], off, off offset:2560
	scratch_load_b128 v[44:47], off, off offset:2576
	scratch_load_b128 v[48:51], off, off offset:2592
	scratch_load_b128 v[52:55], off, off offset:2608
	scratch_load_b128 v[56:59], off, off offset:2624
	scratch_load_b128 v[60:63], off, off offset:2640
	scratch_load_b128 v[64:67], off, off offset:2656
	s_waitcnt vmcnt(5)
	v_cndmask_b32_e32 v1, v1, v46, vcc_lo
	s_clause 0x7
	scratch_load_b128 v[36:39], off, off offset:2288
	scratch_load_b128 v[40:43], off, off offset:2304
	scratch_load_b128 v[44:47], off, off offset:2320
	scratch_load_b128 v[48:51], off, off offset:2336
	scratch_load_b128 v[52:55], off, off offset:2352
	scratch_load_b128 v[56:59], off, off offset:2368
	scratch_load_b128 v[60:63], off, off offset:2384
	scratch_load_b128 v[64:67], off, off offset:2400
	v_cmp_eq_u32_e32 vcc_lo, 6, v11
	s_waitcnt vmcnt(4)
	v_cndmask_b32_e32 v0, v0, v49, vcc_lo
	s_clause 0x7
	scratch_load_b128 v[36:39], off, off offset:2672
	scratch_load_b128 v[40:43], off, off offset:2688
	scratch_load_b128 v[44:47], off, off offset:2704
	scratch_load_b128 v[48:51], off, off offset:2720
	scratch_load_b128 v[52:55], off, off offset:2736
	scratch_load_b128 v[56:59], off, off offset:2752
	scratch_load_b128 v[60:63], off, off offset:2768
	scratch_load_b128 v[64:67], off, off offset:2784
	s_waitcnt vmcnt(4)
	v_cndmask_b32_e32 v1, v1, v48, vcc_lo
	s_clause 0x7
	scratch_load_b128 v[36:39], off, off offset:2160
	scratch_load_b128 v[40:43], off, off offset:2176
	scratch_load_b128 v[44:47], off, off offset:2192
	scratch_load_b128 v[48:51], off, off offset:2208
	scratch_load_b128 v[52:55], off, off offset:2224
	scratch_load_b128 v[56:59], off, off offset:2240
	scratch_load_b128 v[60:63], off, off offset:2256
	scratch_load_b128 v[64:67], off, off offset:2272
	v_cmp_eq_u32_e32 vcc_lo, 7, v11
	s_waitcnt vmcnt(4)
	;; [unrolled: 23-line block ×3, first 2 shown]
	v_cndmask_b32_e32 v3, v0, v53, vcc_lo
	s_clause 0x7
	scratch_load_b128 v[36:39], off, off offset:3824
	scratch_load_b128 v[40:43], off, off offset:3840
	;; [unrolled: 1-line block ×8, first 2 shown]
	s_waitcnt vmcnt(3)
	v_cndmask_b32_e32 v2, v1, v52, vcc_lo
	v_mov_b32_e32 v0, 0
	v_mov_b32_e32 v1, 0
	v_dual_mov_b32 v9, v5 :: v_dual_mov_b32 v8, v4
	s_and_saveexec_b32 s5, s0
	s_cbranch_execz .LBB2_24
; %bb.21:
	s_clause 0x7
	scratch_load_b128 v[36:39], off, off offset:3696
	scratch_load_b128 v[40:43], off, off offset:3712
	;; [unrolled: 1-line block ×8, first 2 shown]
	v_mov_b32_e32 v10, v3
	v_dual_mov_b32 v12, -1 :: v_dual_mov_b32 v5, v11
	v_dual_mov_b32 v4, -1 :: v_dual_mov_b32 v13, -1
	v_dual_mov_b32 v8, -1 :: v_dual_mov_b32 v9, v2
	v_add_nc_u32_e64 v20, 16, 40
	s_mov_b32 s6, 0
	s_waitcnt vmcnt(3)
	v_mov_b32_e32 v17, v53
	s_clause 0x7
	scratch_load_b128 v[36:39], off, off offset:2160
	scratch_load_b128 v[40:43], off, off offset:2176
	scratch_load_b128 v[44:47], off, off offset:2192
	scratch_load_b128 v[48:51], off, off offset:2208
	scratch_load_b128 v[52:55], off, off offset:2224
	scratch_load_b128 v[56:59], off, off offset:2240
	scratch_load_b128 v[60:63], off, off offset:2256
	scratch_load_b128 v[64:67], off, off offset:2272
	s_waitcnt vmcnt(4)
	v_mov_b32_e32 v16, v51
	s_clause 0x7
	scratch_load_b128 v[36:39], off, off offset:2288
	scratch_load_b128 v[40:43], off, off offset:2304
	scratch_load_b128 v[44:47], off, off offset:2320
	scratch_load_b128 v[48:51], off, off offset:2336
	scratch_load_b128 v[52:55], off, off offset:2352
	scratch_load_b128 v[56:59], off, off offset:2368
	scratch_load_b128 v[60:63], off, off offset:2384
	scratch_load_b128 v[64:67], off, off offset:2400
	;; [unrolled: 11-line block ×7, first 2 shown]
	s_waitcnt vmcnt(3)
	v_mov_b32_e32 v26, v52
.LBB2_22:                               ; =>This Inner Loop Header: Depth=1
	s_delay_alu instid0(VALU_DEP_1) | instskip(SKIP_4) | instid1(VALU_DEP_1)
	v_lshl_add_u32 v0, v5, 2, v20
	scratch_load_b32 v18, v0, off
	s_waitcnt vmcnt(0)
	v_cmp_gt_i32_e32 vcc_lo, 0, v18
	v_cndmask_b32_e32 v19, v18, v11, vcc_lo
	v_cmp_eq_u32_e64 s1, 1, v19
	v_cmp_eq_u32_e64 s2, 2, v19
	s_delay_alu instid0(VALU_DEP_2) | instskip(SKIP_2) | instid1(VALU_DEP_3)
	v_cndmask_b32_e64 v0, v249, v247, s1
	v_cndmask_b32_e64 v1, v248, v246, s1
	v_cmp_eq_u32_e64 s1, 3, v19
	v_cndmask_b32_e64 v0, v0, v109, s2
	s_delay_alu instid0(VALU_DEP_3) | instskip(NEXT) | instid1(VALU_DEP_2)
	v_cndmask_b32_e64 v1, v1, v108, s2
	v_cndmask_b32_e64 v0, v0, v35, s1
	s_delay_alu instid0(VALU_DEP_2) | instskip(SKIP_1) | instid1(VALU_DEP_1)
	v_cndmask_b32_e64 v1, v1, v34, s1
	v_cmp_eq_u32_e64 s1, 4, v19
	v_cndmask_b32_e64 v0, v0, v83, s1
	s_delay_alu instid0(VALU_DEP_3) | instskip(SKIP_1) | instid1(VALU_DEP_1)
	v_cndmask_b32_e64 v1, v1, v82, s1
	v_cmp_eq_u32_e64 s1, 5, v19
	v_cndmask_b32_e64 v0, v0, v22, s1
	s_delay_alu instid0(VALU_DEP_3) | instskip(SKIP_1) | instid1(VALU_DEP_1)
	;; [unrolled: 4-line block ×4, first 2 shown]
	v_cndmask_b32_e64 v1, v1, v25, s1
	v_cmp_eq_u32_e64 s1, 8, v19
	v_cndmask_b32_e64 v15, v0, v17, s1
	s_delay_alu instid0(VALU_DEP_3) | instskip(SKIP_1) | instid1(VALU_DEP_2)
	v_cndmask_b32_e64 v14, v1, v26, s1
	v_dual_mov_b32 v0, v9 :: v_dual_mov_b32 v1, v10
	v_dual_mov_b32 v9, v14 :: v_dual_mov_b32 v10, v15
	s_delay_alu instid0(VALU_DEP_2) | instskip(SKIP_3) | instid1(VALU_DEP_3)
	v_cmp_le_f64_e64 s1, 0, v[0:1]
	v_cmp_gt_f64_e64 s2, 0, v[14:15]
	v_cmp_gt_f64_e64 s3, 0, v[0:1]
	v_cmp_le_f64_e64 s4, 0, v[14:15]
	s_and_b32 s1, s1, s2
	s_delay_alu instid0(VALU_DEP_1)
	s_and_b32 s2, s3, s4
	v_cndmask_b32_e64 v8, v8, v19, s1
	v_cndmask_b32_e64 v13, v13, v19, s2
	;; [unrolled: 1-line block ×4, first 2 shown]
	v_mov_b32_e32 v5, v18
	s_or_b32 s6, vcc_lo, s6
	s_delay_alu instid0(SALU_CYCLE_1)
	s_and_not1_b32 exec_lo, exec_lo, s6
	s_cbranch_execnz .LBB2_22
; %bb.23:
	s_or_b32 exec_lo, exec_lo, s6
.LBB2_24:
	s_delay_alu instid0(SALU_CYCLE_1) | instskip(SKIP_3) | instid1(VALU_DEP_3)
	s_or_b32 exec_lo, exec_lo, s5
	v_cmp_lt_i32_e64 s1, -1, v12
	v_dual_mov_b32 v9, -1 :: v_dual_mov_b32 v22, -1
	v_mov_b32_e32 v5, -1
	s_and_saveexec_b32 s26, s1
	s_cbranch_execz .LBB2_26
; %bb.25:
	s_clause 0x7
	scratch_load_b128 v[36:39], off, off offset:2416
	scratch_load_b128 v[40:43], off, off offset:2432
	;; [unrolled: 1-line block ×8, first 2 shown]
	v_cmp_eq_u32_e64 s2, 1, v8
	v_cmp_eq_u32_e64 s3, 2, v8
	;; [unrolled: 1-line block ×5, first 2 shown]
	v_cndmask_b32_e64 v5, v249, v247, s2
	v_cmp_eq_u32_e64 s8, 6, v8
	v_cmp_eq_u32_e64 s10, 7, v8
	v_cmp_eq_u32_e64 s11, 8, v8
	v_cndmask_b32_e64 v8, v248, v246, s2
	v_cndmask_b32_e64 v5, v5, v109, s3
	v_cmp_eq_u32_e64 s12, 1, v12
	v_cmp_eq_u32_e64 s13, 2, v12
	v_cmp_eq_u32_e64 s14, 3, v12
	v_cndmask_b32_e64 v8, v8, v108, s3
	;; [unrolled: 5-line block ×3, first 2 shown]
	v_cndmask_b32_e64 v5, v5, v83, s5
	v_cmp_eq_u32_e64 s18, 7, v12
	v_cmp_eq_u32_e64 s19, 8, v12
	s_delay_alu instid0(VALU_DEP_4)
	v_cndmask_b32_e64 v8, v8, v82, s5
	s_waitcnt vmcnt(5)
	v_mov_b32_e32 v33, v47
	s_clause 0x7
	scratch_load_b128 v[36:39], off, off offset:2288
	scratch_load_b128 v[40:43], off, off offset:2304
	;; [unrolled: 1-line block ×8, first 2 shown]
	s_waitcnt vmcnt(4)
	v_mov_b32_e32 v32, v49
	s_clause 0x7
	scratch_load_b128 v[36:39], off, off offset:2160
	scratch_load_b128 v[40:43], off, off offset:2176
	;; [unrolled: 1-line block ×8, first 2 shown]
	v_cndmask_b32_e64 v5, v5, v33, s6
	s_delay_alu instid0(VALU_DEP_1)
	v_cndmask_b32_e64 v5, v5, v32, s8
	s_waitcnt vmcnt(4)
	v_mov_b32_e32 v16, v51
	s_clause 0x7
	scratch_load_b128 v[36:39], off, off offset:2544
	scratch_load_b128 v[40:43], off, off offset:2560
	scratch_load_b128 v[44:47], off, off offset:2576
	scratch_load_b128 v[48:51], off, off offset:2592
	scratch_load_b128 v[52:55], off, off offset:2608
	scratch_load_b128 v[56:59], off, off offset:2624
	scratch_load_b128 v[60:63], off, off offset:2640
	scratch_load_b128 v[64:67], off, off offset:2656
	s_waitcnt vmcnt(5)
	v_mov_b32_e32 v68, v46
	s_clause 0x7
	scratch_load_b128 v[36:39], off, off offset:2672
	scratch_load_b128 v[40:43], off, off offset:2688
	scratch_load_b128 v[44:47], off, off offset:2704
	scratch_load_b128 v[48:51], off, off offset:2720
	scratch_load_b128 v[52:55], off, off offset:2736
	scratch_load_b128 v[56:59], off, off offset:2752
	scratch_load_b128 v[60:63], off, off offset:2768
	scratch_load_b128 v[64:67], off, off offset:2784
	;; [unrolled: 11-line block ×3, first 2 shown]
	v_cndmask_b32_e64 v5, v5, v16, s10
	s_waitcnt vmcnt(4)
	v_mov_b32_e32 v70, v50
	s_clause 0x7
	scratch_load_b128 v[36:39], off, off offset:3696
	scratch_load_b128 v[40:43], off, off offset:3712
	;; [unrolled: 1-line block ×8, first 2 shown]
	s_waitcnt vmcnt(3)
	v_mov_b32_e32 v17, v53
	s_clause 0x7
	scratch_load_b128 v[36:39], off, off offset:3824
	scratch_load_b128 v[40:43], off, off offset:3840
	;; [unrolled: 1-line block ×8, first 2 shown]
	v_cndmask_b32_e64 v8, v8, v68, s6
	v_cndmask_b32_e64 v15, v5, v17, s11
	;; [unrolled: 1-line block ×3, first 2 shown]
	s_delay_alu instid0(VALU_DEP_3) | instskip(NEXT) | instid1(VALU_DEP_2)
	v_cndmask_b32_e64 v8, v8, v69, s8
	v_cndmask_b32_e64 v5, v5, v109, s13
	s_delay_alu instid0(VALU_DEP_2) | instskip(NEXT) | instid1(VALU_DEP_2)
	v_cndmask_b32_e64 v8, v8, v70, s10
	v_cndmask_b32_e64 v5, v5, v35, s14
	s_delay_alu instid0(VALU_DEP_1) | instskip(NEXT) | instid1(VALU_DEP_1)
	v_cndmask_b32_e64 v5, v5, v83, s15
	v_cndmask_b32_e64 v5, v5, v33, s16
	s_delay_alu instid0(VALU_DEP_1) | instskip(NEXT) | instid1(VALU_DEP_1)
	v_cndmask_b32_e64 v5, v5, v32, s17
	v_cndmask_b32_e64 v5, v5, v16, s18
	s_delay_alu instid0(VALU_DEP_1) | instskip(SKIP_3) | instid1(VALU_DEP_1)
	v_cndmask_b32_e64 v19, v5, v17, s19
	scratch_load_b32 v5, off, off offset:100
	s_waitcnt vmcnt(4)
	v_mov_b32_e32 v36, v52
	v_cndmask_b32_e64 v14, v8, v36, s11
	v_cndmask_b32_e64 v8, v248, v246, s12
	s_delay_alu instid0(VALU_DEP_2) | instskip(NEXT) | instid1(VALU_DEP_2)
	v_add_f64 v[20:21], -v[14:15], 0
	v_cndmask_b32_e64 v8, v8, v108, s13
	s_delay_alu instid0(VALU_DEP_1) | instskip(NEXT) | instid1(VALU_DEP_1)
	v_cndmask_b32_e64 v8, v8, v34, s14
	v_cndmask_b32_e64 v8, v8, v82, s15
	s_delay_alu instid0(VALU_DEP_1) | instskip(NEXT) | instid1(VALU_DEP_1)
	v_cndmask_b32_e64 v8, v8, v68, s16
	;; [unrolled: 3-line block ×3, first 2 shown]
	v_cndmask_b32_e64 v18, v8, v36, s19
	s_waitcnt vmcnt(0)
	v_cmp_eq_u32_e64 s20, 7, v5
	v_cmp_eq_u32_e64 s21, 6, v5
	;; [unrolled: 1-line block ×4, first 2 shown]
	v_add_f64 v[22:23], v[18:19], -v[14:15]
	v_cmp_eq_u32_e64 s7, 3, v5
	s_delay_alu instid0(VALU_DEP_2) | instskip(NEXT) | instid1(VALU_DEP_1)
	v_div_scale_f64 v[24:25], null, v[22:23], v[22:23], v[20:21]
	v_rcp_f64_e32 v[26:27], v[24:25]
	s_waitcnt_depctr 0xfff
	v_fma_f64 v[28:29], -v[24:25], v[26:27], 1.0
	s_delay_alu instid0(VALU_DEP_1) | instskip(NEXT) | instid1(VALU_DEP_1)
	v_fma_f64 v[26:27], v[26:27], v[28:29], v[26:27]
	v_fma_f64 v[28:29], -v[24:25], v[26:27], 1.0
	s_delay_alu instid0(VALU_DEP_1) | instskip(SKIP_1) | instid1(VALU_DEP_1)
	v_fma_f64 v[26:27], v[26:27], v[28:29], v[26:27]
	v_div_scale_f64 v[28:29], vcc_lo, v[20:21], v[22:23], v[20:21]
	v_mul_f64 v[30:31], v[28:29], v[26:27]
	s_delay_alu instid0(VALU_DEP_1) | instskip(SKIP_1) | instid1(VALU_DEP_1)
	v_fma_f64 v[24:25], -v[24:25], v[30:31], v[28:29]
	v_cndmask_b32_e64 v29, v244, v240, s12
	v_cndmask_b32_e64 v29, v29, v250, s13
	s_delay_alu instid0(VALU_DEP_3) | instskip(SKIP_2) | instid1(VALU_DEP_1)
	v_div_fmas_f64 v[24:25], v[24:25], v[26:27], v[30:31]
	v_cmp_eq_u32_e32 vcc_lo, 8, v5
	v_cndmask_b32_e64 v27, v244, v240, s2
	v_cndmask_b32_e64 v27, v27, v250, s3
	s_delay_alu instid0(VALU_DEP_4) | instskip(SKIP_1) | instid1(VALU_DEP_1)
	v_div_fixup_f64 v[52:53], v[24:25], v[22:23], v[20:21]
	v_cndmask_b32_e64 v22, v245, v241, s2
	v_cndmask_b32_e64 v22, v22, v251, s3
	s_delay_alu instid0(VALU_DEP_3) | instskip(NEXT) | instid1(VALU_DEP_1)
	v_add_f64 v[54:55], -v[52:53], 1.0
	v_mul_f64 v[14:15], v[14:15], v[54:55]
	s_delay_alu instid0(VALU_DEP_1) | instskip(NEXT) | instid1(VALU_DEP_1)
	v_fma_f64 v[63:64], v[18:19], v[52:53], v[14:15]
	v_cndmask_b32_e64 v14, v69, v63, s21
	v_cndmask_b32_e64 v15, v68, v63, s22
	s_delay_alu instid0(VALU_DEP_3)
	v_cndmask_b32_e32 v21, v17, v64, vcc_lo
	v_cndmask_b32_e64 v10, v70, v63, s20
	v_cndmask_b32_e64 v23, v82, v63, s9
	;; [unrolled: 1-line block ×3, first 2 shown]
	s_clause 0x7
	scratch_load_b128 v[65:68], off, off offset:880
	scratch_load_b128 v[69:72], off, off offset:896
	;; [unrolled: 1-line block ×8, first 2 shown]
	v_cndmask_b32_e64 v26, v35, v64, s7
	v_cndmask_b32_e32 v8, v36, v63, vcc_lo
	v_cndmask_b32_e64 v24, v34, v63, s7
	v_cndmask_b32_e64 v20, v16, v64, s20
	;; [unrolled: 1-line block ×4, first 2 shown]
	s_waitcnt vmcnt(6)
	v_dual_mov_b32 v38, v71 :: v_dual_mov_b32 v39, v72
	s_clause 0x7
	scratch_load_b128 v[65:68], off, off offset:1264
	scratch_load_b128 v[69:72], off, off offset:1280
	;; [unrolled: 1-line block ×8, first 2 shown]
	v_cndmask_b32_e64 v27, v27, v38, s4
	v_cndmask_b32_e64 v22, v22, v39, s4
	;; [unrolled: 1-line block ×3, first 2 shown]
	s_delay_alu instid0(VALU_DEP_3) | instskip(NEXT) | instid1(VALU_DEP_3)
	v_cndmask_b32_e64 v27, v27, v202, s5
	v_cndmask_b32_e64 v22, v22, v203, s5
	s_delay_alu instid0(VALU_DEP_3)
	v_cndmask_b32_e64 v29, v29, v202, s15
	s_waitcnt vmcnt(5)
	v_mov_b32_e32 v35, v76
	s_clause 0x7
	scratch_load_b128 v[65:68], off, off offset:3568
	scratch_load_b128 v[69:72], off, off offset:3584
	;; [unrolled: 1-line block ×8, first 2 shown]
	s_waitcnt vmcnt(5)
	v_mov_b32_e32 v36, v75
	s_clause 0x7
	scratch_load_b128 v[65:68], off, off offset:1136
	scratch_load_b128 v[69:72], off, off offset:1152
	;; [unrolled: 1-line block ×8, first 2 shown]
	v_cndmask_b32_e64 v22, v22, v35, s6
	v_cndmask_b32_e64 v27, v27, v36, s6
	;; [unrolled: 1-line block ×3, first 2 shown]
	s_waitcnt vmcnt(4)
	v_mov_b32_e32 v31, v78
	s_clause 0x7
	scratch_load_b128 v[65:68], off, off offset:3440
	scratch_load_b128 v[69:72], off, off offset:3456
	;; [unrolled: 1-line block ×8, first 2 shown]
	v_cndmask_b32_e64 v22, v22, v31, s8
	s_waitcnt vmcnt(4)
	v_mov_b32_e32 v34, v77
	s_clause 0x7
	scratch_load_b128 v[65:68], off, off offset:3056
	scratch_load_b128 v[69:72], off, off offset:3072
	scratch_load_b128 v[73:76], off, off offset:3088
	scratch_load_b128 v[77:80], off, off offset:3104
	scratch_load_b128 v[81:84], off, off offset:3120
	scratch_load_b128 v[85:88], off, off offset:3136
	scratch_load_b128 v[89:92], off, off offset:3152
	scratch_load_b128 v[93:96], off, off offset:3168
	s_waitcnt vmcnt(4)
	v_mov_b32_e32 v16, v80
	s_clause 0x7
	scratch_load_b128 v[65:68], off, off offset:3312
	scratch_load_b128 v[69:72], off, off offset:3328
	scratch_load_b128 v[73:76], off, off offset:3344
	scratch_load_b128 v[77:80], off, off offset:3360
	scratch_load_b128 v[81:84], off, off offset:3376
	scratch_load_b128 v[85:88], off, off offset:3392
	scratch_load_b128 v[89:92], off, off offset:3408
	scratch_load_b128 v[93:96], off, off offset:3424
	;; [unrolled: 11-line block ×4, first 2 shown]
	v_cndmask_b32_e64 v27, v27, v34, s8
	v_cndmask_b32_e64 v29, v29, v34, s17
	s_delay_alu instid0(VALU_DEP_2) | instskip(NEXT) | instid1(VALU_DEP_2)
	v_cndmask_b32_e64 v27, v27, v33, s10
	v_cndmask_b32_e64 v29, v29, v33, s18
	s_waitcnt vmcnt(3)
	v_mov_b32_e32 v32, v81
	s_clause 0x7
	scratch_load_b128 v[67:70], off, off offset:1008
	scratch_load_b128 v[71:74], off, off offset:1024
	;; [unrolled: 1-line block ×8, first 2 shown]
	v_cndmask_b32_e64 v27, v27, v32, s11
	v_cndmask_b32_e64 v29, v29, v32, s19
	s_waitcnt vmcnt(5)
	v_mov_b32_e32 v41, v78
	s_clause 0x7
	scratch_load_b128 v[67:70], off, off offset:2032
	scratch_load_b128 v[71:74], off, off offset:2048
	;; [unrolled: 1-line block ×8, first 2 shown]
	v_cndmask_b32_e64 v22, v22, v16, s10
	s_delay_alu instid0(VALU_DEP_1) | instskip(SKIP_1) | instid1(VALU_DEP_2)
	v_cndmask_b32_e64 v28, v22, v17, s11
	v_cndmask_b32_e64 v22, v245, v241, s12
	v_mul_f64 v[27:28], v[27:28], v[54:55]
	s_delay_alu instid0(VALU_DEP_2) | instskip(NEXT) | instid1(VALU_DEP_1)
	v_cndmask_b32_e64 v22, v22, v251, s13
	v_cndmask_b32_e64 v22, v22, v39, s14
	s_delay_alu instid0(VALU_DEP_1) | instskip(NEXT) | instid1(VALU_DEP_1)
	v_cndmask_b32_e64 v22, v22, v203, s15
	v_cndmask_b32_e64 v22, v22, v35, s16
	s_delay_alu instid0(VALU_DEP_1) | instskip(NEXT) | instid1(VALU_DEP_1)
	v_cndmask_b32_e64 v22, v22, v31, s17
	v_cndmask_b32_e64 v22, v22, v16, s18
	s_delay_alu instid0(VALU_DEP_1) | instskip(SKIP_1) | instid1(VALU_DEP_1)
	v_cndmask_b32_e64 v30, v22, v17, s19
	v_cndmask_b32_e64 v22, v253, v243, s2
	;; [unrolled: 1-line block ×3, first 2 shown]
	s_delay_alu instid0(VALU_DEP_3) | instskip(NEXT) | instid1(VALU_DEP_2)
	v_fma_f64 v[65:66], v[29:30], v[52:53], v[27:28]
	v_cndmask_b32_e64 v22, v22, v117, s4
	s_delay_alu instid0(VALU_DEP_1) | instskip(NEXT) | instid1(VALU_DEP_1)
	v_cndmask_b32_e64 v22, v22, v127, s5
	v_cndmask_b32_e64 v22, v22, v41, s6
	s_delay_alu instid0(VALU_DEP_4)
	v_cndmask_b32_e64 v29, v33, v65, s20
	v_cndmask_b32_e64 v33, v16, v66, s20
	;; [unrolled: 1-line block ×3, first 2 shown]
	v_cndmask_b32_e32 v34, v17, v66, vcc_lo
	v_cndmask_b32_e64 v27, v36, v65, s22
	v_cndmask_b32_e64 v36, v38, v65, s7
	;; [unrolled: 1-line block ×5, first 2 shown]
	s_delay_alu instid0(VALU_DEP_2) | instskip(NEXT) | instid1(VALU_DEP_1)
	v_cndmask_b32_e64 v39, v39, v228, s3
	v_cndmask_b32_e64 v39, v39, v116, s4
	s_delay_alu instid0(VALU_DEP_1)
	v_cndmask_b32_e64 v39, v39, v126, s5
	s_waitcnt vmcnt(5)
	v_mov_b32_e32 v49, v77
	s_clause 0x7
	scratch_load_b128 v[67:70], off, off offset:3952
	scratch_load_b128 v[71:74], off, off offset:3968
	;; [unrolled: 1-line block ×8, first 2 shown]
	s_waitcnt vmcnt(4)
	v_mov_b32_e32 v40, v80
	s_clause 0x7
	scratch_load_b128 v[67:70], off, off offset:1904
	scratch_load_b128 v[71:74], off, off offset:1920
	scratch_load_b128 v[75:78], off, off offset:1936
	scratch_load_b128 v[79:82], off, off offset:1952
	scratch_load_b128 v[83:86], off, off offset:1968
	scratch_load_b128 v[87:90], off, off offset:1984
	scratch_load_b128 v[91:94], off, off offset:2000
	scratch_load_b128 v[95:98], off, off offset:2016
	v_cndmask_b32_e64 v39, v39, v49, s6
	v_cndmask_b32_e64 v22, v22, v40, s8
	s_waitcnt vmcnt(4)
	v_mov_b32_e32 v48, v79
	s_clause 0x7
	scratch_load_b128 v[67:70], off, off offset:1520
	scratch_load_b128 v[71:74], off, off offset:1536
	;; [unrolled: 1-line block ×8, first 2 shown]
	s_waitcnt vmcnt(4)
	v_mov_b32_e32 v16, v82
	s_clause 0x7
	scratch_load_b128 v[67:70], off, off offset:1776
	scratch_load_b128 v[71:74], off, off offset:1792
	;; [unrolled: 1-line block ×8, first 2 shown]
	v_cndmask_b32_e64 v22, v22, v16, s10
	s_waitcnt vmcnt(4)
	v_mov_b32_e32 v47, v81
	s_clause 0x7
	scratch_load_b128 v[67:70], off, off offset:1392
	scratch_load_b128 v[71:74], off, off offset:1408
	;; [unrolled: 1-line block ×8, first 2 shown]
	v_cndmask_b32_e64 v39, v39, v48, s8
	s_delay_alu instid0(VALU_DEP_1)
	v_cndmask_b32_e64 v39, v39, v47, s10
	s_waitcnt vmcnt(3)
	v_mov_b32_e32 v17, v84
	s_clause 0x7
	scratch_load_b128 v[67:70], off, off offset:1648
	scratch_load_b128 v[71:74], off, off offset:1664
	;; [unrolled: 1-line block ×8, first 2 shown]
	v_cndmask_b32_e64 v43, v22, v17, s11
	v_cndmask_b32_e64 v22, v253, v243, s12
	s_delay_alu instid0(VALU_DEP_1) | instskip(NEXT) | instid1(VALU_DEP_1)
	v_cndmask_b32_e64 v22, v22, v229, s13
	v_cndmask_b32_e64 v22, v22, v117, s14
	s_delay_alu instid0(VALU_DEP_1) | instskip(NEXT) | instid1(VALU_DEP_1)
	;; [unrolled: 3-line block ×3, first 2 shown]
	v_cndmask_b32_e64 v22, v22, v40, s17
	v_cndmask_b32_e64 v22, v22, v16, s18
	s_delay_alu instid0(VALU_DEP_1) | instskip(SKIP_1) | instid1(VALU_DEP_1)
	v_cndmask_b32_e64 v45, v22, v17, s19
	v_cndmask_b32_e64 v22, v237, v235, s2
	;; [unrolled: 1-line block ×3, first 2 shown]
	s_delay_alu instid0(VALU_DEP_1) | instskip(NEXT) | instid1(VALU_DEP_1)
	v_cndmask_b32_e64 v22, v22, v183, s4
	v_cndmask_b32_e64 v22, v22, v193, s5
	s_waitcnt vmcnt(3)
	v_mov_b32_e32 v46, v83
	s_clause 0x7
	scratch_load_b128 v[69:72], off, off offset:368
	scratch_load_b128 v[73:76], off, off offset:384
	;; [unrolled: 1-line block ×8, first 2 shown]
	v_cndmask_b32_e64 v42, v39, v46, s11
	v_cndmask_b32_e64 v39, v252, v242, s12
	s_delay_alu instid0(VALU_DEP_2) | instskip(NEXT) | instid1(VALU_DEP_2)
	v_mul_f64 v[42:43], v[42:43], v[54:55]
	v_cndmask_b32_e64 v39, v39, v228, s13
	s_delay_alu instid0(VALU_DEP_1) | instskip(NEXT) | instid1(VALU_DEP_1)
	v_cndmask_b32_e64 v39, v39, v116, s14
	v_cndmask_b32_e64 v39, v39, v126, s15
	s_delay_alu instid0(VALU_DEP_1) | instskip(NEXT) | instid1(VALU_DEP_1)
	v_cndmask_b32_e64 v39, v39, v49, s16
	;; [unrolled: 3-line block ×3, first 2 shown]
	v_cndmask_b32_e64 v44, v39, v46, s19
	s_delay_alu instid0(VALU_DEP_1) | instskip(NEXT) | instid1(VALU_DEP_1)
	v_fma_f64 v[67:68], v[44:45], v[52:53], v[42:43]
	v_cndmask_b32_e64 v45, v41, v68, s22
	v_cndmask_b32_e64 v7, v117, v68, s7
	s_delay_alu instid0(VALU_DEP_3)
	v_cndmask_b32_e32 v44, v46, v67, vcc_lo
	v_cndmask_b32_e64 v46, v40, v68, s21
	v_cndmask_b32_e64 v39, v49, v67, s22
	;; [unrolled: 1-line block ×5, first 2 shown]
	v_cmp_eq_u32_e64 s2, 6, v13
	v_cndmask_b32_e32 v48, v17, v68, vcc_lo
	v_cndmask_b32_e64 v49, v49, v254, s3
	v_cmp_eq_u32_e64 s3, 8, v13
	v_cndmask_b32_e64 v6, v116, v67, s7
	v_cndmask_b32_e64 v17, v127, v68, s9
	s_delay_alu instid0(VALU_DEP_4) | instskip(SKIP_1) | instid1(VALU_DEP_2)
	v_cndmask_b32_e64 v49, v49, v182, s4
	v_cmp_eq_u32_e64 s4, 4, v13
	v_cndmask_b32_e64 v49, v49, v192, s5
	v_cmp_eq_u32_e64 s5, 7, v13
	s_delay_alu instid0(VALU_DEP_2)
	v_cndmask_b32_e64 v49, v49, v154, s6
	s_waitcnt vmcnt(5)
	v_mov_b32_e32 v50, v80
	s_clause 0x7
	scratch_load_b128 v[69:72], off, off offset:240
	scratch_load_b128 v[73:76], off, off offset:256
	;; [unrolled: 1-line block ×8, first 2 shown]
	v_cndmask_b32_e32 v30, v32, v65, vcc_lo
	v_cndmask_b32_e64 v32, v31, v66, s21
	v_cndmask_b32_e64 v31, v35, v66, s22
	;; [unrolled: 1-line block ×3, first 2 shown]
	v_cmp_eq_u32_e64 s6, 5, v13
	v_cndmask_b32_e64 v35, v202, v65, s9
	s_waitcnt vmcnt(4)
	v_mov_b32_e32 v41, v82
	s_clause 0x7
	scratch_load_b128 v[69:72], off, off offset:752
	scratch_load_b128 v[73:76], off, off offset:768
	;; [unrolled: 1-line block ×8, first 2 shown]
	v_cndmask_b32_e64 v22, v22, v41, s8
	s_waitcnt vmcnt(4)
	v_mov_b32_e32 v59, v81
	s_clause 0x7
	scratch_load_b128 v[69:72], off, off offset:112
	scratch_load_b128 v[73:76], off, off offset:128
	;; [unrolled: 1-line block ×8, first 2 shown]
	v_cndmask_b32_e64 v47, v16, v68, s20
	v_cndmask_b32_e64 v16, v126, v67, s9
	;; [unrolled: 1-line block ×3, first 2 shown]
	v_cmp_eq_u32_e64 s8, 3, v13
	s_waitcnt vmcnt(4)
	v_mov_b32_e32 v40, v84
	s_clause 0x7
	scratch_load_b128 v[69:72], off, off offset:624
	scratch_load_b128 v[73:76], off, off offset:640
	;; [unrolled: 1-line block ×8, first 2 shown]
	v_cndmask_b32_e64 v22, v22, v40, s10
	s_delay_alu instid0(VALU_DEP_1) | instskip(SKIP_1) | instid1(VALU_DEP_1)
	v_cndmask_b32_e64 v57, v22, v101, s11
	v_cndmask_b32_e64 v22, v237, v235, s12
	;; [unrolled: 1-line block ×3, first 2 shown]
	s_delay_alu instid0(VALU_DEP_1) | instskip(NEXT) | instid1(VALU_DEP_1)
	v_cndmask_b32_e64 v22, v22, v183, s14
	v_cndmask_b32_e64 v22, v22, v193, s15
	s_delay_alu instid0(VALU_DEP_1) | instskip(NEXT) | instid1(VALU_DEP_1)
	v_cndmask_b32_e64 v22, v22, v50, s16
	v_cndmask_b32_e64 v22, v22, v41, s17
	s_delay_alu instid0(VALU_DEP_1)
	v_cndmask_b32_e64 v22, v22, v40, s18
	s_waitcnt vmcnt(4)
	v_mov_b32_e32 v58, v83
	s_clause 0x7
	scratch_load_b128 v[69:72], off, off offset:496
	scratch_load_b128 v[73:76], off, off offset:512
	;; [unrolled: 1-line block ×8, first 2 shown]
	v_cndmask_b32_e64 v49, v49, v58, s10
	v_cmp_eq_u32_e64 s10, 1, v4
	s_waitcnt vmcnt(3)
	v_mov_b32_e32 v51, v85
	s_delay_alu instid0(VALU_DEP_1) | instskip(SKIP_3) | instid1(VALU_DEP_4)
	v_cndmask_b32_e64 v56, v49, v51, s11
	v_cndmask_b32_e64 v49, v236, v234, s12
	v_cmp_eq_u32_e64 s12, 7, v4
	v_cmp_eq_u32_e64 s11, 8, v4
	v_mul_f64 v[54:55], v[56:57], v[54:55]
	s_delay_alu instid0(VALU_DEP_4) | instskip(SKIP_2) | instid1(VALU_DEP_3)
	v_cndmask_b32_e64 v49, v49, v254, s13
	v_cndmask_b32_e64 v57, v22, v101, s19
	v_cmp_eq_u32_e64 s13, 5, v4
	v_cndmask_b32_e64 v49, v49, v182, s14
	v_cmp_eq_u32_e64 s14, 6, v4
	s_delay_alu instid0(VALU_DEP_2) | instskip(SKIP_1) | instid1(VALU_DEP_2)
	v_cndmask_b32_e64 v49, v49, v192, s15
	v_cmp_eq_u32_e64 s15, 4, v4
	v_cndmask_b32_e64 v49, v49, v154, s16
	v_cmp_eq_u32_e64 s16, 2, v4
	s_delay_alu instid0(VALU_DEP_2) | instskip(SKIP_1) | instid1(VALU_DEP_2)
	;; [unrolled: 5-line block ×3, first 2 shown]
	v_cndmask_b32_e64 v56, v49, v51, s19
	v_cmp_eq_u32_e64 s19, 1, v13
	v_fma_f64 v[69:70], v[56:57], v[52:53], v[54:55]
	s_delay_alu instid0(VALU_DEP_1) | instskip(SKIP_1) | instid1(VALU_DEP_3)
	v_cndmask_b32_e64 v53, v58, v69, s20
	v_cndmask_b32_e64 v52, v59, v69, s21
	;; [unrolled: 1-line block ×4, first 2 shown]
	v_cmp_eq_u32_e64 s20, 1, v5
	v_cmp_eq_u32_e64 s21, 0, v5
	v_cndmask_b32_e64 v49, v154, v69, s22
	v_cndmask_b32_e64 v55, v50, v70, s22
	v_cmp_eq_u32_e64 s22, 2, v5
	v_cndmask_b32_e64 v60, v246, v63, s20
	v_cndmask_b32_e64 v59, v248, v63, s21
	;; [unrolled: 1-line block ×4, first 2 shown]
	v_cndmask_b32_e32 v58, v101, v70, vcc_lo
	v_lshlrev_b32_e32 v22, 2, v5
	v_cndmask_b32_e64 v85, v108, v63, s22
	v_cndmask_b32_e64 v86, v109, v64, s22
	;; [unrolled: 1-line block ×6, first 2 shown]
	v_add3_u32 v22, 16, v22, 40
	v_cndmask_b32_e64 v63, v63, v86, s16
	v_cndmask_b32_e64 v64, v64, v85, s16
	;; [unrolled: 1-line block ×4, first 2 shown]
	scratch_load_b32 v22, v22, off
	v_cndmask_b32_e64 v63, v63, v26, s17
	v_cndmask_b32_e64 v64, v64, v24, s17
	;; [unrolled: 1-line block ×4, first 2 shown]
	v_cndmask_b32_e32 v54, v51, v69, vcc_lo
	v_cndmask_b32_e64 v63, v63, v25, s15
	v_cndmask_b32_e64 v64, v64, v23, s15
	;; [unrolled: 1-line block ×9, first 2 shown]
	s_waitcnt vmcnt(3)
	v_cndmask_b32_e64 v89, v252, v67, s21
	v_cndmask_b32_e64 v63, v63, v19, s14
	;; [unrolled: 1-line block ×15, first 2 shown]
	s_waitcnt vmcnt(2)
	v_cndmask_b32_e64 v95, v234, v69, s20
	v_cndmask_b32_e64 v96, v236, v69, s21
	v_add_f64 v[73:74], -v[63:64], 0
	s_waitcnt vmcnt(1)
	v_cndmask_b32_e64 v99, v235, v70, s20
	v_add_f64 v[75:76], v[71:72], -v[63:64]
	v_cndmask_b32_e64 v100, v237, v70, s21
	v_cndmask_b32_e64 v87, v228, v67, s22
	;; [unrolled: 1-line block ×11, first 2 shown]
	s_delay_alu instid0(VALU_DEP_4) | instskip(NEXT) | instid1(VALU_DEP_4)
	v_cndmask_b32_e64 v101, v101, v98, s16
	v_cndmask_b32_e64 v102, v102, v94, s16
	s_delay_alu instid0(VALU_DEP_4) | instskip(NEXT) | instid1(VALU_DEP_4)
	v_cndmask_b32_e64 v67, v67, v90, s18
	v_cndmask_b32_e64 v68, v68, v87, s18
	v_div_scale_f64 v[77:78], null, v[75:76], v[75:76], v[73:74]
	v_div_scale_f64 v[83:84], vcc_lo, v[73:74], v[75:76], v[73:74]
	s_delay_alu instid0(VALU_DEP_2) | instskip(SKIP_2) | instid1(VALU_DEP_1)
	v_rcp_f64_e32 v[79:80], v[77:78]
	s_waitcnt_depctr 0xfff
	v_fma_f64 v[81:82], -v[77:78], v[79:80], 1.0
	v_fma_f64 v[79:80], v[79:80], v[81:82], v[79:80]
	s_delay_alu instid0(VALU_DEP_1) | instskip(NEXT) | instid1(VALU_DEP_1)
	v_fma_f64 v[81:82], -v[77:78], v[79:80], 1.0
	v_fma_f64 v[79:80], v[79:80], v[81:82], v[79:80]
	s_delay_alu instid0(VALU_DEP_1) | instskip(SKIP_2) | instid1(VALU_DEP_1)
	v_mul_f64 v[81:82], v[83:84], v[79:80]
	s_waitcnt vmcnt(0)
	v_lshlrev_b32_e32 v4, 2, v22
	v_add3_u32 v4, 16, v4, 40
	scratch_load_b32 v4, v4, off
	v_fma_f64 v[77:78], -v[77:78], v[81:82], v[83:84]
	v_cndmask_b32_e64 v84, v245, v66, s21
	v_cndmask_b32_e64 v83, v96, v95, s19
	s_delay_alu instid0(VALU_DEP_1) | instskip(NEXT) | instid1(VALU_DEP_1)
	v_cndmask_b32_e64 v83, v83, v94, s18
	v_cndmask_b32_e64 v83, v83, v93, s8
	v_div_fmas_f64 v[77:78], v[77:78], v[79:80], v[81:82]
	v_cndmask_b32_e64 v79, v244, v65, s21
	v_cndmask_b32_e64 v81, v241, v66, s20
	;; [unrolled: 1-line block ×4, first 2 shown]
	v_cmp_eq_u32_e32 vcc_lo, 3, v22
	s_delay_alu instid0(VALU_DEP_4) | instskip(NEXT) | instid1(VALU_DEP_3)
	v_cndmask_b32_e64 v50, v84, v81, s19
	v_cndmask_b32_e64 v82, v82, v98, s18
	s_delay_alu instid0(VALU_DEP_2) | instskip(NEXT) | instid1(VALU_DEP_2)
	v_cndmask_b32_e64 v50, v50, v80, s18
	v_cndmask_b32_e64 v82, v82, v97, s8
	s_delay_alu instid0(VALU_DEP_2)
	v_cndmask_b32_e64 v103, v50, v38, s8
	v_div_fixup_f64 v[73:74], v[77:78], v[75:76], v[73:74]
	v_cndmask_b32_e64 v78, v240, v65, s20
	v_cndmask_b32_e64 v77, v250, v65, s22
	;; [unrolled: 1-line block ×37, first 2 shown]
	v_add_f64 v[40:41], -v[73:74], 1.0
	v_cndmask_b32_e64 v69, v69, v55, s13
	v_cndmask_b32_e64 v70, v70, v49, s13
	;; [unrolled: 1-line block ×3, first 2 shown]
	s_delay_alu instid0(VALU_DEP_4)
	v_mul_f64 v[50:51], v[63:64], v[40:41]
	v_cndmask_b32_e64 v64, v101, v34, s11
	v_cndmask_b32_e64 v63, v102, v30, s11
	;; [unrolled: 1-line block ×13, first 2 shown]
	v_mul_f64 v[63:64], v[63:64], v[40:41]
	v_cndmask_b32_e64 v68, v67, v58, s11
	v_cndmask_b32_e64 v67, v69, v54, s11
	;; [unrolled: 1-line block ×4, first 2 shown]
	v_mul_f64 v[65:66], v[65:66], v[40:41]
	v_cndmask_b32_e64 v102, v102, v17, s4
	v_mul_f64 v[40:41], v[67:68], v[40:41]
	v_cndmask_b32_e64 v67, v69, v32, s2
	v_cndmask_b32_e64 v68, v101, v28, s2
	;; [unrolled: 1-line block ×8, first 2 shown]
	s_delay_alu instid0(VALU_DEP_4) | instskip(NEXT) | instid1(VALU_DEP_2)
	v_cndmask_b32_e64 v70, v70, v39, s6
	v_cndmask_b32_e64 v69, v69, v56, s2
	s_delay_alu instid0(VALU_DEP_2)
	v_cndmask_b32_e64 v70, v70, v42, s2
	v_fma_f64 v[67:68], v[71:72], v[73:74], v[50:51]
	v_cndmask_b32_e64 v71, v83, v75, s4
	v_cndmask_b32_e64 v72, v82, v46, s2
	v_cndmask_b32_e64 v50, v102, v30, s3
	v_cndmask_b32_e64 v70, v70, v43, s5
	v_cndmask_b32_e64 v69, v69, v57, s5
	v_cndmask_b32_e64 v71, v71, v49, s6
	v_cndmask_b32_e64 v72, v72, v47, s5
	v_cmp_eq_u32_e64 s4, 1, v22
	s_delay_alu instid0(VALU_DEP_3) | instskip(SKIP_1) | instid1(VALU_DEP_1)
	v_cndmask_b32_e64 v71, v71, v52, s2
	v_cmp_eq_u32_e64 s2, 4, v22
	v_cndmask_b32_e64 v83, v25, v68, s2
	v_cndmask_b32_e32 v25, v24, v67, vcc_lo
	v_cndmask_b32_e64 v51, v101, v34, s3
	v_cndmask_b32_e64 v82, v23, v67, s2
	v_cndmask_b32_e32 v26, v26, v68, vcc_lo
	v_cndmask_b32_e64 v247, v61, v68, s4
	v_cndmask_b32_e64 v246, v60, v67, s4
	v_fma_f64 v[63:64], v[50:51], v[73:74], v[63:64]
	v_cndmask_b32_e64 v50, v70, v44, s3
	v_cndmask_b32_e64 v70, v71, v53, s5
	v_cmp_eq_u32_e64 s5, 0, v22
	s_delay_alu instid0(VALU_DEP_1)
	v_cndmask_b32_e64 v249, v62, v68, s5
	v_cndmask_b32_e64 v248, v59, v67, s5
	v_cndmask_b32_e32 v23, v36, v63, vcc_lo
	v_cndmask_b32_e64 v51, v72, v48, s3
	v_cndmask_b32_e32 v24, v38, v64, vcc_lo
	v_cndmask_b32_e64 v203, v37, v64, s2
	v_cndmask_b32_e64 v202, v35, v63, s2
	;; [unrolled: 1-line block ×3, first 2 shown]
	v_fma_f64 v[65:66], v[50:51], v[73:74], v[65:66]
	v_cndmask_b32_e64 v51, v69, v58, s3
	v_cndmask_b32_e64 v50, v70, v54, s3
	v_cmp_eq_u32_e64 s3, 2, v22
	v_cndmask_b32_e64 v240, v78, v63, s4
	v_cndmask_b32_e64 v245, v84, v64, s5
	;; [unrolled: 1-line block ×3, first 2 shown]
	v_fma_f64 v[69:70], v[50:51], v[73:74], v[40:41]
	v_cndmask_b32_e64 v109, v86, v68, s3
	v_cndmask_b32_e64 v108, v85, v67, s3
	;; [unrolled: 1-line block ×4, first 2 shown]
	s_waitcnt vmcnt(0)
	scratch_store_b32 off, v4, off offset:100
	v_cndmask_b32_e32 v117, v7, v66, vcc_lo
	s_clause 0x7
	scratch_store_b128 off, v[17:20], off offset:880
	scratch_store_b128 off, v[21:24], off offset:896
	;; [unrolled: 1-line block ×8, first 2 shown]
	v_cndmask_b32_e32 v116, v6, v65, vcc_lo
	v_cndmask_b32_e64 v126, v16, v65, s2
	v_cndmask_b32_e64 v229, v90, v66, s3
	;; [unrolled: 1-line block ×4, first 2 shown]
	v_cndmask_b32_e32 v183, v97, v70, vcc_lo
	v_cndmask_b32_e32 v182, v93, v69, vcc_lo
	v_cndmask_b32_e64 v242, v88, v65, s4
	v_cndmask_b32_e64 v193, v76, v70, s2
	;; [unrolled: 1-line block ×11, first 2 shown]
	v_cmp_eq_u32_e32 vcc_lo, 8, v22
	v_cndmask_b32_e64 v127, v17, v66, s2
	v_cmp_eq_u32_e64 s2, 7, v22
	v_cmp_eq_u32_e64 s3, 6, v22
	;; [unrolled: 1-line block ×3, first 2 shown]
	v_cndmask_b32_e32 v17, v21, v68, vcc_lo
	s_clause 0x7
	scratch_store_b128 off, v[0:3], off offset:3696
	scratch_store_b128 off, v[4:7], off offset:3712
	;; [unrolled: 1-line block ×8, first 2 shown]
	v_cndmask_b32_e64 v154, v49, v69, s4
	v_cndmask_b32_e32 v16, v8, v67, vcc_lo
	s_clause 0x7
	scratch_store_b128 off, v[0:3], off offset:3824
	scratch_store_b128 off, v[4:7], off offset:3840
	scratch_store_b128 off, v[8:11], off offset:3856
	scratch_store_b128 off, v[12:15], off offset:3872
	scratch_store_b128 off, v[16:19], off offset:3888
	scratch_store_b128 off, v[20:23], off offset:3904
	scratch_store_b128 off, v[24:27], off offset:3920
	scratch_store_b128 off, v[28:31], off offset:3936
	v_cndmask_b32_e64 v16, v20, v68, s2
	s_clause 0x7
	scratch_store_b128 off, v[1:4], off offset:2160
	scratch_store_b128 off, v[5:8], off offset:2176
	scratch_store_b128 off, v[9:12], off offset:2192
	scratch_store_b128 off, v[13:16], off offset:2208
	scratch_store_b128 off, v[17:20], off offset:2224
	scratch_store_b128 off, v[21:24], off offset:2240
	scratch_store_b128 off, v[25:28], off offset:2256
	scratch_store_b128 off, v[29:32], off offset:2272
	v_cndmask_b32_e64 v16, v10, v67, s2
	;; [unrolled: 10-line block ×6, first 2 shown]
	s_clause 0x7
	scratch_store_b128 off, v[0:3], off offset:2544
	scratch_store_b128 off, v[4:7], off offset:2560
	;; [unrolled: 1-line block ×8, first 2 shown]
	v_cndmask_b32_e32 v17, v34, v64, vcc_lo
	s_clause 0x7
	scratch_store_b128 off, v[0:3], off offset:2928
	scratch_store_b128 off, v[4:7], off offset:2944
	;; [unrolled: 1-line block ×8, first 2 shown]
	v_cndmask_b32_e32 v16, v30, v63, vcc_lo
	s_clause 0x7
	scratch_store_b128 off, v[0:3], off offset:3184
	scratch_store_b128 off, v[4:7], off offset:3200
	scratch_store_b128 off, v[8:11], off offset:3216
	scratch_store_b128 off, v[12:15], off offset:3232
	scratch_store_b128 off, v[16:19], off offset:3248
	scratch_store_b128 off, v[20:23], off offset:3264
	scratch_store_b128 off, v[24:27], off offset:3280
	scratch_store_b128 off, v[28:31], off offset:3296
	v_cndmask_b32_e64 v15, v33, v64, s2
	s_clause 0x7
	scratch_store_b128 off, v[0:3], off offset:3056
	scratch_store_b128 off, v[4:7], off offset:3072
	scratch_store_b128 off, v[8:11], off offset:3088
	scratch_store_b128 off, v[12:15], off offset:3104
	scratch_store_b128 off, v[16:19], off offset:3120
	scratch_store_b128 off, v[20:23], off offset:3136
	scratch_store_b128 off, v[24:27], off offset:3152
	scratch_store_b128 off, v[28:31], off offset:3168
	v_cndmask_b32_e64 v14, v29, v63, s2
	;; [unrolled: 10-line block ×6, first 2 shown]
	s_clause 0x7
	scratch_store_b128 off, v[0:3], off offset:3568
	scratch_store_b128 off, v[4:7], off offset:3584
	;; [unrolled: 1-line block ×8, first 2 shown]
	v_cndmask_b32_e32 v17, v48, v66, vcc_lo
	s_clause 0x7
	scratch_store_b128 off, v[0:3], off offset:1392
	scratch_store_b128 off, v[4:7], off offset:1408
	;; [unrolled: 1-line block ×8, first 2 shown]
	v_cndmask_b32_e32 v16, v44, v65, vcc_lo
	s_clause 0x7
	scratch_store_b128 off, v[0:3], off offset:1648
	scratch_store_b128 off, v[4:7], off offset:1664
	scratch_store_b128 off, v[8:11], off offset:1680
	scratch_store_b128 off, v[12:15], off offset:1696
	scratch_store_b128 off, v[16:19], off offset:1712
	scratch_store_b128 off, v[20:23], off offset:1728
	scratch_store_b128 off, v[24:27], off offset:1744
	scratch_store_b128 off, v[28:31], off offset:1760
	v_cndmask_b32_e64 v15, v47, v66, s2
	s_clause 0x7
	scratch_store_b128 off, v[0:3], off offset:1520
	scratch_store_b128 off, v[4:7], off offset:1536
	scratch_store_b128 off, v[8:11], off offset:1552
	scratch_store_b128 off, v[12:15], off offset:1568
	scratch_store_b128 off, v[16:19], off offset:1584
	scratch_store_b128 off, v[20:23], off offset:1600
	scratch_store_b128 off, v[24:27], off offset:1616
	scratch_store_b128 off, v[28:31], off offset:1632
	v_cndmask_b32_e64 v14, v43, v65, s2
	;; [unrolled: 10-line block ×6, first 2 shown]
	s_clause 0x7
	scratch_store_b128 off, v[0:3], off offset:2032
	scratch_store_b128 off, v[4:7], off offset:2048
	;; [unrolled: 1-line block ×8, first 2 shown]
	v_cndmask_b32_e32 v16, v54, v69, vcc_lo
	s_clause 0x7
	scratch_store_b128 off, v[0:3], off offset:496
	scratch_store_b128 off, v[4:7], off offset:512
	scratch_store_b128 off, v[8:11], off offset:528
	scratch_store_b128 off, v[12:15], off offset:544
	scratch_store_b128 off, v[16:19], off offset:560
	scratch_store_b128 off, v[20:23], off offset:576
	scratch_store_b128 off, v[24:27], off offset:592
	scratch_store_b128 off, v[28:31], off offset:608
	v_cndmask_b32_e64 v15, v57, v70, s2
	s_clause 0x7
	scratch_store_b128 off, v[0:3], off offset:112
	scratch_store_b128 off, v[4:7], off offset:128
	scratch_store_b128 off, v[8:11], off offset:144
	scratch_store_b128 off, v[12:15], off offset:160
	scratch_store_b128 off, v[16:19], off offset:176
	scratch_store_b128 off, v[20:23], off offset:192
	scratch_store_b128 off, v[24:27], off offset:208
	scratch_store_b128 off, v[28:31], off offset:224
	v_cndmask_b32_e64 v14, v53, v69, s2
	;; [unrolled: 10-line block ×5, first 2 shown]
	s_clause 0x7
	scratch_store_b128 off, v[3:6], off offset:368
	scratch_store_b128 off, v[7:10], off offset:384
	;; [unrolled: 1-line block ×8, first 2 shown]
	v_mov_b32_e32 v35, v26
	v_dual_cndmask_b32 v101, v58, v70 :: v_dual_mov_b32 v34, v25
.LBB2_26:
	s_or_b32 exec_lo, exec_lo, s26
	s_mov_b32 s2, 0
	scratch_store_b32 off, v9, off offset:96
	s_mov_b32 s3, exec_lo
	s_clause 0x7
	scratch_load_b128 v[36:39], off, off offset:3056
	scratch_load_b128 v[40:43], off, off offset:3072
	;; [unrolled: 1-line block ×8, first 2 shown]
	v_add_nc_u32_e64 v76, 16, 40
	s_and_b32 s0, s3, s0
	s_waitcnt vmcnt(4)
	v_mov_b32_e32 v36, v51
	s_mov_b32 exec_lo, s0
	s_cbranch_execz .LBB2_36
; %bb.27:
	v_cmp_gt_f64_e32 vcc_lo, 0, v[2:3]
	s_mov_b32 s4, 0
	s_branch .LBB2_29
.LBB2_28:                               ;   in Loop: Header=BB2_29 Depth=1
	s_or_b32 exec_lo, exec_lo, s0
	s_waitcnt vmcnt(0)
	v_cmp_gt_i32_e64 s0, 0, v2
	v_mov_b32_e32 v11, v2
	s_delay_alu instid0(VALU_DEP_2) | instskip(NEXT) | instid1(SALU_CYCLE_1)
	s_or_b32 s4, s0, s4
	s_and_not1_b32 exec_lo, exec_lo, s4
	s_cbranch_execz .LBB2_35
.LBB2_29:                               ; =>This Inner Loop Header: Depth=1
	s_clause 0x7
	scratch_load_b128 v[37:40], off, off offset:2416
	scratch_load_b128 v[41:44], off, off offset:2432
	;; [unrolled: 1-line block ×8, first 2 shown]
	v_cmp_eq_u32_e64 s0, 1, v11
	v_cmp_eq_u32_e64 s2, 2, v11
	s_delay_alu instid0(VALU_DEP_2) | instskip(SKIP_2) | instid1(VALU_DEP_3)
	v_cndmask_b32_e64 v2, v249, v247, s0
	v_cndmask_b32_e64 v3, v248, v246, s0
	v_cmp_eq_u32_e64 s0, 3, v11
	v_cndmask_b32_e64 v2, v2, v109, s2
	s_delay_alu instid0(VALU_DEP_3) | instskip(SKIP_1) | instid1(VALU_DEP_2)
	v_cndmask_b32_e64 v3, v3, v108, s2
	s_mov_b32 s2, 0
	v_cndmask_b32_e64 v2, v2, v35, s0
	s_delay_alu instid0(VALU_DEP_2) | instskip(SKIP_1) | instid1(VALU_DEP_1)
	v_cndmask_b32_e64 v3, v3, v34, s0
	v_cmp_eq_u32_e64 s0, 4, v11
	v_cndmask_b32_e64 v2, v2, v83, s0
	s_delay_alu instid0(VALU_DEP_3) | instskip(SKIP_2) | instid1(VALU_DEP_1)
	v_cndmask_b32_e64 v3, v3, v82, s0
	v_cmp_eq_u32_e64 s0, 5, v11
	s_waitcnt vmcnt(5)
	v_cndmask_b32_e64 v2, v2, v48, s0
	s_clause 0x7
	scratch_load_b128 v[37:40], off, off offset:2544
	scratch_load_b128 v[41:44], off, off offset:2560
	scratch_load_b128 v[45:48], off, off offset:2576
	scratch_load_b128 v[49:52], off, off offset:2592
	scratch_load_b128 v[53:56], off, off offset:2608
	scratch_load_b128 v[57:60], off, off offset:2624
	scratch_load_b128 v[61:64], off, off offset:2640
	scratch_load_b128 v[65:68], off, off offset:2656
	s_waitcnt vmcnt(5)
	v_cndmask_b32_e64 v3, v3, v47, s0
	s_clause 0x7
	scratch_load_b128 v[37:40], off, off offset:2288
	scratch_load_b128 v[41:44], off, off offset:2304
	scratch_load_b128 v[45:48], off, off offset:2320
	scratch_load_b128 v[49:52], off, off offset:2336
	scratch_load_b128 v[53:56], off, off offset:2352
	scratch_load_b128 v[57:60], off, off offset:2368
	scratch_load_b128 v[61:64], off, off offset:2384
	scratch_load_b128 v[65:68], off, off offset:2400
	v_cmp_eq_u32_e64 s0, 6, v11
	s_waitcnt vmcnt(4)
	s_delay_alu instid0(VALU_DEP_1)
	v_cndmask_b32_e64 v2, v2, v50, s0
	s_clause 0x7
	scratch_load_b128 v[37:40], off, off offset:2672
	scratch_load_b128 v[41:44], off, off offset:2688
	scratch_load_b128 v[45:48], off, off offset:2704
	scratch_load_b128 v[49:52], off, off offset:2720
	scratch_load_b128 v[53:56], off, off offset:2736
	scratch_load_b128 v[57:60], off, off offset:2752
	scratch_load_b128 v[61:64], off, off offset:2768
	scratch_load_b128 v[65:68], off, off offset:2784
	s_waitcnt vmcnt(4)
	v_cndmask_b32_e64 v3, v3, v49, s0
	s_clause 0x7
	scratch_load_b128 v[37:40], off, off offset:2160
	scratch_load_b128 v[41:44], off, off offset:2176
	scratch_load_b128 v[45:48], off, off offset:2192
	scratch_load_b128 v[49:52], off, off offset:2208
	scratch_load_b128 v[53:56], off, off offset:2224
	scratch_load_b128 v[57:60], off, off offset:2240
	scratch_load_b128 v[61:64], off, off offset:2256
	scratch_load_b128 v[65:68], off, off offset:2272
	v_cmp_eq_u32_e64 s0, 7, v11
	s_waitcnt vmcnt(4)
	s_delay_alu instid0(VALU_DEP_1)
	;; [unrolled: 24-line block ×3, first 2 shown]
	v_cndmask_b32_e64 v3, v2, v54, s0
	s_clause 0x7
	scratch_load_b128 v[37:40], off, off offset:3824
	scratch_load_b128 v[41:44], off, off offset:3840
	;; [unrolled: 1-line block ×8, first 2 shown]
	s_waitcnt vmcnt(3)
	v_cndmask_b32_e64 v2, v4, v53, s0
	v_lshl_add_u32 v4, v11, 2, v76
	s_delay_alu instid0(VALU_DEP_2) | instskip(SKIP_2) | instid1(SALU_CYCLE_1)
	v_cmp_ngt_f64_e64 s0, 0, v[2:3]
	scratch_load_b32 v2, v4, off
                                        ; implicit-def: $vgpr3
	s_and_saveexec_b32 s5, s0
	s_xor_b32 s5, exec_lo, s5
	s_cbranch_execnz .LBB2_32
; %bb.30:                               ;   in Loop: Header=BB2_29 Depth=1
	s_and_not1_saveexec_b32 s0, s5
	s_cbranch_execnz .LBB2_33
.LBB2_31:                               ;   in Loop: Header=BB2_29 Depth=1
	s_or_b32 exec_lo, exec_lo, s0
	s_and_saveexec_b32 s0, s2
	s_cbranch_execz .LBB2_28
	s_branch .LBB2_34
.LBB2_32:                               ;   in Loop: Header=BB2_29 Depth=1
	scratch_load_b32 v3, off, off offset:96
                                        ; implicit-def: $vgpr4
	s_waitcnt vmcnt(0)
	v_cmp_eq_u32_e64 s0, -1, v3
	v_mov_b32_e32 v3, 0x60
	s_delay_alu instid0(VALU_DEP_2)
	s_and_b32 s2, s0, exec_lo
	s_and_not1_saveexec_b32 s0, s5
	s_cbranch_execz .LBB2_31
.LBB2_33:                               ;   in Loop: Header=BB2_29 Depth=1
	scratch_load_b32 v8, off, off offset:100
	v_mov_b32_e32 v3, 0x64
	s_or_b32 s2, s2, exec_lo
	s_waitcnt vmcnt(0)
	scratch_store_b32 v4, v8, off
	s_or_b32 exec_lo, exec_lo, s0
	s_and_saveexec_b32 s0, s2
	s_cbranch_execz .LBB2_28
.LBB2_34:                               ;   in Loop: Header=BB2_29 Depth=1
	scratch_store_b32 v3, v11, off
	s_branch .LBB2_28
.LBB2_35:
	s_or_b32 exec_lo, exec_lo, s4
	s_delay_alu instid0(SALU_CYCLE_1)
	s_and_b32 s2, vcc_lo, exec_lo
.LBB2_36:
	s_or_b32 exec_lo, exec_lo, s3
	s_and_saveexec_b32 s0, s1
; %bb.37:
	v_cmp_gt_f64_e32 vcc_lo, 0, v[0:1]
	v_lshlrev_b32_e32 v2, 2, v12
	v_lshlrev_b32_e32 v1, 2, v5
	;; [unrolled: 1-line block ×3, first 2 shown]
	s_delay_alu instid0(VALU_DEP_3) | instskip(NEXT) | instid1(VALU_DEP_3)
	v_add3_u32 v2, 16, v2, 40
	v_add3_u32 v1, 16, v1, 40
	s_delay_alu instid0(VALU_DEP_3) | instskip(SKIP_1) | instid1(SALU_CYCLE_1)
	v_add3_u32 v0, 16, v0, 40
	s_or_b32 s1, vcc_lo, s2
	v_cndmask_b32_e64 v3, v13, -1, s1
	s_clause 0x2
	scratch_store_b32 v2, v5, off
	scratch_store_b32 v1, v22, off
	scratch_store_b32 v0, v3, off
; %bb.38:
	s_or_b32 exec_lo, exec_lo, s0
	s_clause 0x8
	scratch_load_b32 v105, off, off offset:96
	scratch_load_b128 v[2:5], off, off offset:880
	scratch_load_b128 v[6:9], off, off offset:896
	;; [unrolled: 1-line block ×8, first 2 shown]
	v_mov_b32_e32 v85, -1
	v_dual_mov_b32 v86, -1 :: v_dual_mov_b32 v145, 0
	v_dual_mov_b32 v146, 0 :: v_dual_mov_b32 v143, -1
	v_mov_b32_e32 v142, -1
	s_waitcnt vmcnt(8)
	v_cmp_eq_u32_e32 vcc_lo, 1, v105
	v_cmp_eq_u32_e64 s0, 2, v105
	v_dual_cndmask_b32 v0, v245, v241 :: v_dual_cndmask_b32 v1, v244, v240
	v_cmp_eq_u32_e32 vcc_lo, 3, v105
	s_delay_alu instid0(VALU_DEP_2) | instskip(NEXT) | instid1(VALU_DEP_3)
	v_cndmask_b32_e64 v0, v0, v251, s0
	v_cndmask_b32_e64 v1, v1, v250, s0
	v_cmp_lt_i32_e64 s0, -1, v105
	s_waitcnt vmcnt(6)
	s_delay_alu instid0(VALU_DEP_2)
	v_dual_cndmask_b32 v0, v0, v9 :: v_dual_cndmask_b32 v1, v1, v8
	s_clause 0x7
	scratch_load_b128 v[2:5], off, off offset:1264
	scratch_load_b128 v[6:9], off, off offset:1280
	;; [unrolled: 1-line block ×8, first 2 shown]
	v_cmp_eq_u32_e32 vcc_lo, 4, v105
	v_dual_cndmask_b32 v0, v0, v203 :: v_dual_cndmask_b32 v1, v1, v202
	v_cmp_eq_u32_e32 vcc_lo, 5, v105
	s_waitcnt vmcnt(5)
	s_delay_alu instid0(VALU_DEP_2)
	v_cndmask_b32_e32 v0, v0, v13, vcc_lo
	s_clause 0x7
	scratch_load_b128 v[2:5], off, off offset:3568
	scratch_load_b128 v[6:9], off, off offset:3584
	;; [unrolled: 1-line block ×8, first 2 shown]
	s_waitcnt vmcnt(5)
	v_cndmask_b32_e32 v1, v1, v12, vcc_lo
	s_clause 0x7
	scratch_load_b128 v[2:5], off, off offset:1136
	scratch_load_b128 v[6:9], off, off offset:1152
	;; [unrolled: 1-line block ×8, first 2 shown]
	v_cmp_eq_u32_e32 vcc_lo, 6, v105
	s_waitcnt vmcnt(4)
	v_cndmask_b32_e32 v0, v0, v15, vcc_lo
	s_clause 0x7
	scratch_load_b128 v[2:5], off, off offset:3440
	scratch_load_b128 v[6:9], off, off offset:3456
	;; [unrolled: 1-line block ×8, first 2 shown]
	s_waitcnt vmcnt(4)
	v_cndmask_b32_e32 v1, v1, v14, vcc_lo
	s_clause 0x7
	scratch_load_b128 v[2:5], off, off offset:3312
	scratch_load_b128 v[6:9], off, off offset:3328
	;; [unrolled: 1-line block ×8, first 2 shown]
	v_cmp_eq_u32_e32 vcc_lo, 7, v105
	v_cndmask_b32_e32 v0, v0, v36, vcc_lo
	s_waitcnt vmcnt(4)
	v_cndmask_b32_e32 v1, v1, v16, vcc_lo
	s_clause 0xf
	scratch_load_b128 v[2:5], off, off offset:2928
	scratch_load_b128 v[6:9], off, off offset:2944
	;; [unrolled: 1-line block ×16, first 2 shown]
	v_cmp_eq_u32_e32 vcc_lo, 8, v105
	s_waitcnt vmcnt(14)
	v_dual_mov_b32 v8, v85 :: v_dual_mov_b32 v9, v86
	s_waitcnt vmcnt(3)
	v_dual_cndmask_b32 v107, v0, v19 :: v_dual_cndmask_b32 v106, v1, v52
	s_mov_b32 s5, exec_lo
	v_dual_mov_b32 v111, v35 :: v_dual_mov_b32 v110, v34
	s_and_b32 s1, s5, s0
	s_delay_alu instid0(SALU_CYCLE_1)
	s_mov_b32 exec_lo, s1
	s_cbranch_execz .LBB2_42
; %bb.39:
	s_clause 0xf
	scratch_load_b128 v[14:17], off, off offset:880
	scratch_load_b128 v[18:21], off, off offset:896
	;; [unrolled: 1-line block ×16, first 2 shown]
	v_dual_mov_b32 v142, -1 :: v_dual_mov_b32 v5, v105
	v_dual_mov_b32 v85, -1 :: v_dual_mov_b32 v8, -1
	v_mov_b32_e32 v143, -1
	s_mov_b32 s6, 0
	s_waitcnt vmcnt(3)
	v_mov_b32_e32 v17, v39
	s_clause 0x7
	scratch_load_b128 v[22:25], off, off offset:3056
	scratch_load_b128 v[26:29], off, off offset:3072
	scratch_load_b128 v[30:33], off, off offset:3088
	scratch_load_b128 v[34:37], off, off offset:3104
	scratch_load_b128 v[38:41], off, off offset:3120
	scratch_load_b128 v[42:45], off, off offset:3136
	scratch_load_b128 v[46:49], off, off offset:3152
	scratch_load_b128 v[50:53], off, off offset:3168
	v_dual_mov_b32 v9, v106 :: v_dual_mov_b32 v10, v107
	s_waitcnt vmcnt(4)
	v_mov_b32_e32 v16, v37
	s_clause 0x7
	scratch_load_b128 v[22:25], off, off offset:1136
	scratch_load_b128 v[26:29], off, off offset:1152
	scratch_load_b128 v[30:33], off, off offset:1168
	scratch_load_b128 v[34:37], off, off offset:1184
	scratch_load_b128 v[38:41], off, off offset:1200
	scratch_load_b128 v[42:45], off, off offset:1216
	scratch_load_b128 v[46:49], off, off offset:1232
	scratch_load_b128 v[50:53], off, off offset:1248
	s_waitcnt vmcnt(4)
	v_mov_b32_e32 v22, v35
	s_clause 0x7
	scratch_load_b128 v[23:26], off, off offset:1264
	scratch_load_b128 v[27:30], off, off offset:1280
	scratch_load_b128 v[31:34], off, off offset:1296
	scratch_load_b128 v[35:38], off, off offset:1312
	scratch_load_b128 v[39:42], off, off offset:1328
	scratch_load_b128 v[43:46], off, off offset:1344
	scratch_load_b128 v[47:50], off, off offset:1360
	scratch_load_b128 v[51:54], off, off offset:1376
	;; [unrolled: 11-line block ×6, first 2 shown]
	s_waitcnt vmcnt(5)
	v_mov_b32_e32 v26, v36
.LBB2_40:                               ; =>This Inner Loop Header: Depth=1
	s_delay_alu instid0(VALU_DEP_1)
	v_lshl_add_u32 v0, v5, 2, v76
	v_dual_mov_b32 v146, v10 :: v_dual_mov_b32 v145, v9
	v_add_nc_u32_e64 v76, 16, 40
	scratch_load_b32 v18, v0, off
	v_cmp_gt_f64_e64 s3, 0, v[145:146]
	s_waitcnt vmcnt(0)
	v_cmp_gt_i32_e32 vcc_lo, 0, v18
	v_cndmask_b32_e32 v19, v18, v105, vcc_lo
	s_delay_alu instid0(VALU_DEP_1) | instskip(SKIP_1) | instid1(VALU_DEP_2)
	v_cmp_eq_u32_e64 s1, 1, v19
	v_cmp_eq_u32_e64 s2, 2, v19
	v_cndmask_b32_e64 v0, v245, v241, s1
	v_cndmask_b32_e64 v1, v244, v240, s1
	v_cmp_eq_u32_e64 s1, 3, v19
	s_delay_alu instid0(VALU_DEP_3) | instskip(NEXT) | instid1(VALU_DEP_3)
	v_cndmask_b32_e64 v0, v0, v251, s2
	v_cndmask_b32_e64 v1, v1, v250, s2
	s_delay_alu instid0(VALU_DEP_2) | instskip(NEXT) | instid1(VALU_DEP_2)
	v_cndmask_b32_e64 v0, v0, v21, s1
	v_cndmask_b32_e64 v1, v1, v20, s1
	v_cmp_eq_u32_e64 s1, 4, v19
	s_delay_alu instid0(VALU_DEP_1) | instskip(NEXT) | instid1(VALU_DEP_3)
	v_cndmask_b32_e64 v0, v0, v203, s1
	v_cndmask_b32_e64 v1, v1, v202, s1
	v_cmp_eq_u32_e64 s1, 5, v19
	s_delay_alu instid0(VALU_DEP_1) | instskip(NEXT) | instid1(VALU_DEP_3)
	;; [unrolled: 4-line block ×5, first 2 shown]
	v_cndmask_b32_e64 v15, v0, v17, s1
	v_cndmask_b32_e64 v14, v1, v23, s1
	v_cmp_le_f64_e64 s1, 0, v[145:146]
	s_delay_alu instid0(VALU_DEP_2) | instskip(SKIP_2) | instid1(VALU_DEP_3)
	v_cmp_gt_f64_e64 s2, 0, v[14:15]
	v_cmp_le_f64_e64 s4, 0, v[14:15]
	v_dual_mov_b32 v9, v14 :: v_dual_mov_b32 v10, v15
	s_and_b32 s1, s1, s2
	s_delay_alu instid0(VALU_DEP_2)
	s_and_b32 s2, s3, s4
	v_cndmask_b32_e64 v8, v8, v19, s1
	v_cndmask_b32_e64 v143, v143, v19, s2
	;; [unrolled: 1-line block ×4, first 2 shown]
	v_mov_b32_e32 v5, v18
	s_or_b32 s6, vcc_lo, s6
	s_delay_alu instid0(SALU_CYCLE_1)
	s_and_not1_b32 exec_lo, exec_lo, s6
	s_cbranch_execnz .LBB2_40
; %bb.41:
	s_or_b32 exec_lo, exec_lo, s6
.LBB2_42:
	s_delay_alu instid0(SALU_CYCLE_1) | instskip(SKIP_3) | instid1(VALU_DEP_3)
	s_or_b32 exec_lo, exec_lo, s5
	v_cmp_lt_i32_e64 s1, -1, v142
	v_dual_mov_b32 v144, -1 :: v_dual_mov_b32 v5, -1
	v_mov_b32_e32 v10, -1
	s_and_saveexec_b32 s26, s1
	s_cbranch_execz .LBB2_44
; %bb.43:
	s_clause 0xf
	scratch_load_b128 v[32:35], off, off offset:880
	scratch_load_b128 v[36:39], off, off offset:896
	scratch_load_b128 v[40:43], off, off offset:912
	scratch_load_b128 v[44:47], off, off offset:928
	scratch_load_b128 v[48:51], off, off offset:944
	scratch_load_b128 v[52:55], off, off offset:960
	scratch_load_b128 v[56:59], off, off offset:976
	scratch_load_b128 v[60:63], off, off offset:992
	scratch_load_b128 v[40:43], off, off offset:1264
	scratch_load_b128 v[44:47], off, off offset:1280
	scratch_load_b128 v[48:51], off, off offset:1296
	scratch_load_b128 v[52:55], off, off offset:1312
	scratch_load_b128 v[56:59], off, off offset:1328
	scratch_load_b128 v[60:63], off, off offset:1344
	scratch_load_b128 v[64:67], off, off offset:1360
	scratch_load_b128 v[68:71], off, off offset:1376
	v_cmp_eq_u32_e64 s2, 1, v8
	v_cmp_eq_u32_e64 s3, 2, v8
	;; [unrolled: 1-line block ×5, first 2 shown]
	v_cndmask_b32_e64 v5, v245, v241, s2
	v_cmp_eq_u32_e64 s7, 6, v8
	v_cmp_eq_u32_e64 s8, 7, v8
	;; [unrolled: 1-line block ×3, first 2 shown]
	v_cndmask_b32_e64 v8, v244, v240, s2
	v_cndmask_b32_e64 v5, v5, v251, s3
	v_cmp_eq_u32_e64 s10, 1, v142
	v_cmp_eq_u32_e64 s11, 2, v142
	;; [unrolled: 1-line block ×3, first 2 shown]
	v_cndmask_b32_e64 v8, v8, v250, s3
	v_cmp_eq_u32_e64 s13, 4, v142
	v_cmp_eq_u32_e64 s14, 5, v142
	;; [unrolled: 1-line block ×5, first 2 shown]
	s_waitcnt vmcnt(14)
	v_dual_mov_b32 v80, v39 :: v_dual_mov_b32 v79, v38
	s_waitcnt vmcnt(5)
	v_mov_b32_e32 v73, v51
	s_clause 0x7
	scratch_load_b128 v[40:43], off, off offset:1136
	scratch_load_b128 v[44:47], off, off offset:1152
	;; [unrolled: 1-line block ×8, first 2 shown]
	v_cndmask_b32_e64 v5, v5, v80, s4
	v_cndmask_b32_e64 v8, v8, v79, s4
	s_delay_alu instid0(VALU_DEP_2) | instskip(NEXT) | instid1(VALU_DEP_2)
	v_cndmask_b32_e64 v5, v5, v203, s5
	v_cndmask_b32_e64 v8, v8, v202, s5
	s_waitcnt vmcnt(4)
	v_mov_b32_e32 v81, v53
	s_clause 0x7
	scratch_load_b128 v[40:43], off, off offset:3056
	scratch_load_b128 v[44:47], off, off offset:3072
	scratch_load_b128 v[48:51], off, off offset:3088
	scratch_load_b128 v[52:55], off, off offset:3104
	scratch_load_b128 v[56:59], off, off offset:3120
	scratch_load_b128 v[60:63], off, off offset:3136
	scratch_load_b128 v[64:67], off, off offset:3152
	scratch_load_b128 v[68:71], off, off offset:3168
	s_waitcnt vmcnt(4)
	v_mov_b32_e32 v74, v55
	s_clause 0x7
	scratch_load_b128 v[40:43], off, off offset:3568
	scratch_load_b128 v[44:47], off, off offset:3584
	scratch_load_b128 v[48:51], off, off offset:3600
	scratch_load_b128 v[52:55], off, off offset:3616
	scratch_load_b128 v[56:59], off, off offset:3632
	scratch_load_b128 v[60:63], off, off offset:3648
	scratch_load_b128 v[64:67], off, off offset:3664
	scratch_load_b128 v[68:71], off, off offset:3680
	;; [unrolled: 11-line block ×3, first 2 shown]
	v_cndmask_b32_e64 v5, v5, v73, s6
	v_cndmask_b32_e64 v8, v8, v76, s6
	s_delay_alu instid0(VALU_DEP_2) | instskip(NEXT) | instid1(VALU_DEP_1)
	v_cndmask_b32_e64 v5, v5, v81, s7
	v_cndmask_b32_e64 v5, v5, v74, s8
	s_waitcnt vmcnt(4)
	v_mov_b32_e32 v72, v52
	s_clause 0x7
	scratch_load_b128 v[40:43], off, off offset:3312
	scratch_load_b128 v[44:47], off, off offset:3328
	scratch_load_b128 v[48:51], off, off offset:3344
	scratch_load_b128 v[52:55], off, off offset:3360
	scratch_load_b128 v[56:59], off, off offset:3376
	scratch_load_b128 v[60:63], off, off offset:3392
	scratch_load_b128 v[64:67], off, off offset:3408
	scratch_load_b128 v[68:71], off, off offset:3424
	s_waitcnt vmcnt(4)
	v_mov_b32_e32 v84, v54
	s_clause 0x7
	scratch_load_b128 v[40:43], off, off offset:2928
	scratch_load_b128 v[44:47], off, off offset:2944
	scratch_load_b128 v[48:51], off, off offset:2960
	scratch_load_b128 v[52:55], off, off offset:2976
	scratch_load_b128 v[56:59], off, off offset:2992
	scratch_load_b128 v[60:63], off, off offset:3008
	scratch_load_b128 v[64:67], off, off offset:3024
	scratch_load_b128 v[68:71], off, off offset:3040
	;; [unrolled: 11-line block ×3, first 2 shown]
	v_cndmask_b32_e64 v8, v8, v72, s7
	v_cndmask_b32_e64 v78, v5, v75, s9
	;; [unrolled: 1-line block ×3, first 2 shown]
	s_delay_alu instid0(VALU_DEP_1) | instskip(NEXT) | instid1(VALU_DEP_1)
	v_cndmask_b32_e64 v5, v5, v251, s11
	v_cndmask_b32_e64 v5, v5, v80, s12
	s_delay_alu instid0(VALU_DEP_1) | instskip(NEXT) | instid1(VALU_DEP_1)
	v_cndmask_b32_e64 v5, v5, v203, s13
	v_cndmask_b32_e64 v5, v5, v73, s14
	;; [unrolled: 3-line block ×3, first 2 shown]
	s_waitcnt vmcnt(2)
	s_delay_alu instid0(VALU_DEP_1) | instskip(SKIP_1) | instid1(VALU_DEP_1)
	v_cndmask_b32_e64 v63, v5, v75, s19
	v_cndmask_b32_e64 v5, v249, v247, s10
	;; [unrolled: 1-line block ×3, first 2 shown]
	s_delay_alu instid0(VALU_DEP_1) | instskip(NEXT) | instid1(VALU_DEP_1)
	v_cndmask_b32_e64 v5, v5, v111, s12
	v_cndmask_b32_e64 v5, v5, v83, s13
	v_mov_b32_e32 v61, v56
	v_cndmask_b32_e64 v8, v8, v84, s8
	s_delay_alu instid0(VALU_DEP_1) | instskip(SKIP_1) | instid1(VALU_DEP_2)
	v_cndmask_b32_e64 v77, v8, v61, s9
	v_cndmask_b32_e64 v8, v244, v240, s10
	v_add_f64 v[14:15], -v[77:78], 0
	s_delay_alu instid0(VALU_DEP_2) | instskip(NEXT) | instid1(VALU_DEP_1)
	v_cndmask_b32_e64 v8, v8, v250, s11
	v_cndmask_b32_e64 v8, v8, v79, s12
	s_delay_alu instid0(VALU_DEP_1) | instskip(NEXT) | instid1(VALU_DEP_1)
	v_cndmask_b32_e64 v8, v8, v202, s13
	v_cndmask_b32_e64 v8, v8, v76, s14
	s_delay_alu instid0(VALU_DEP_1) | instskip(NEXT) | instid1(VALU_DEP_1)
	v_cndmask_b32_e64 v8, v8, v72, s15
	v_cndmask_b32_e64 v8, v8, v84, s16
	s_delay_alu instid0(VALU_DEP_1) | instskip(SKIP_1) | instid1(VALU_DEP_2)
	v_cndmask_b32_e64 v62, v8, v61, s19
	v_cndmask_b32_e64 v8, v248, v246, s10
	v_add_f64 v[18:19], v[62:63], -v[77:78]
	s_delay_alu instid0(VALU_DEP_2) | instskip(NEXT) | instid1(VALU_DEP_1)
	v_cndmask_b32_e64 v8, v8, v108, s11
	v_cndmask_b32_e64 v8, v8, v110, s12
	s_delay_alu instid0(VALU_DEP_1) | instskip(NEXT) | instid1(VALU_DEP_4)
	v_cndmask_b32_e64 v8, v8, v82, s13
	v_div_scale_f64 v[20:21], null, v[18:19], v[18:19], v[14:15]
	s_delay_alu instid0(VALU_DEP_1) | instskip(SKIP_2) | instid1(VALU_DEP_1)
	v_rcp_f64_e32 v[27:28], v[20:21]
	s_waitcnt_depctr 0xfff
	v_fma_f64 v[29:30], -v[20:21], v[27:28], 1.0
	v_fma_f64 v[27:28], v[27:28], v[29:30], v[27:28]
	s_delay_alu instid0(VALU_DEP_1) | instskip(NEXT) | instid1(VALU_DEP_1)
	v_fma_f64 v[29:30], -v[20:21], v[27:28], 1.0
	v_fma_f64 v[27:28], v[27:28], v[29:30], v[27:28]
	v_div_scale_f64 v[29:30], vcc_lo, v[14:15], v[18:19], v[14:15]
	s_delay_alu instid0(VALU_DEP_1) | instskip(NEXT) | instid1(VALU_DEP_1)
	v_mul_f64 v[31:32], v[29:30], v[27:28]
	v_fma_f64 v[20:21], -v[20:21], v[31:32], v[29:30]
	s_delay_alu instid0(VALU_DEP_1) | instskip(SKIP_1) | instid1(VALU_DEP_1)
	v_div_fmas_f64 v[20:21], v[20:21], v[27:28], v[31:32]
	s_waitcnt vmcnt(1)
	v_div_fixup_f64 v[64:65], v[20:21], v[18:19], v[14:15]
	s_clause 0x7
	scratch_load_b128 v[9:12], off, off offset:2416
	scratch_load_b128 v[13:16], off, off offset:2432
	;; [unrolled: 1-line block ×8, first 2 shown]
	s_waitcnt vmcnt(5)
	v_mov_b32_e32 v69, v20
	s_clause 0x7
	scratch_load_b128 v[9:12], off, off offset:2544
	scratch_load_b128 v[13:16], off, off offset:2560
	;; [unrolled: 1-line block ×8, first 2 shown]
	s_waitcnt vmcnt(5)
	v_mov_b32_e32 v70, v19
	s_clause 0x7
	scratch_load_b128 v[9:12], off, off offset:2288
	scratch_load_b128 v[13:16], off, off offset:2304
	;; [unrolled: 1-line block ×8, first 2 shown]
	v_cndmask_b32_e64 v5, v5, v69, s14
	v_cndmask_b32_e64 v8, v8, v70, s14
	s_waitcnt vmcnt(4)
	v_mov_b32_e32 v66, v22
	s_clause 0xf
	scratch_load_b128 v[9:12], off, off offset:2672
	scratch_load_b128 v[13:16], off, off offset:2688
	;; [unrolled: 1-line block ×16, first 2 shown]
	s_waitcnt vmcnt(1)
	v_add_f64 v[54:55], -v[64:65], 1.0
	v_cndmask_b32_e64 v49, v236, v234, s2
	s_delay_alu instid0(VALU_DEP_1) | instskip(NEXT) | instid1(VALU_DEP_1)
	v_cndmask_b32_e64 v49, v49, v254, s3
	v_cndmask_b32_e64 v49, v49, v182, s4
	s_delay_alu instid0(VALU_DEP_1) | instskip(NEXT) | instid1(VALU_DEP_1)
	v_cndmask_b32_e64 v49, v49, v192, s5
	v_cndmask_b32_e64 v49, v49, v154, s6
	v_mov_b32_e32 v71, v21
	s_clause 0x7
	scratch_load_b128 v[9:12], off, off offset:2800
	scratch_load_b128 v[13:16], off, off offset:2816
	;; [unrolled: 1-line block ×8, first 2 shown]
	v_cndmask_b32_e64 v5, v5, v66, s15
	s_waitcnt vmcnt(0)
	v_cndmask_b32_e64 v39, v252, v242, s2
	v_cndmask_b32_e64 v8, v8, v71, s15
	s_delay_alu instid0(VALU_DEP_3) | instskip(NEXT) | instid1(VALU_DEP_3)
	v_cndmask_b32_e64 v42, v5, v44, s16
	v_cndmask_b32_e64 v39, v39, v228, s3
	s_delay_alu instid0(VALU_DEP_1) | instskip(NEXT) | instid1(VALU_DEP_1)
	v_cndmask_b32_e64 v39, v39, v116, s4
	v_cndmask_b32_e64 v39, v39, v126, s5
	v_mov_b32_e32 v35, v23
	s_delay_alu instid0(VALU_DEP_1)
	v_cndmask_b32_e64 v43, v8, v35, s16
	s_clause 0x7
	scratch_load_b128 v[3:6], off, off offset:3696
	scratch_load_b128 v[7:10], off, off offset:3712
	;; [unrolled: 1-line block ×8, first 2 shown]
	s_waitcnt vmcnt(0)
	v_mov_b32_e32 v32, v20
	s_clause 0x7
	scratch_load_b128 v[0:3], off, off offset:3824
	scratch_load_b128 v[4:7], off, off offset:3840
	;; [unrolled: 1-line block ×8, first 2 shown]
	s_waitcnt vmcnt(6)
	v_cndmask_b32_e64 v5, v249, v247, s2
	s_waitcnt vmcnt(5)
	v_cndmask_b32_e64 v8, v248, v246, s2
	s_waitcnt vmcnt(1)
	v_mul_f64 v[23:24], v[77:78], v[54:55]
	v_cndmask_b32_e64 v34, v42, v32, s19
	v_cndmask_b32_e64 v10, v253, v243, s2
	v_cndmask_b32_e64 v5, v5, v109, s3
	v_cndmask_b32_e64 v8, v8, v108, s3
	s_delay_alu instid0(VALU_DEP_3) | instskip(NEXT) | instid1(VALU_DEP_3)
	v_cndmask_b32_e64 v10, v10, v229, s3
	v_cndmask_b32_e64 v5, v5, v111, s4
	s_delay_alu instid0(VALU_DEP_3) | instskip(NEXT) | instid1(VALU_DEP_3)
	v_cndmask_b32_e64 v8, v8, v110, s4
	v_cndmask_b32_e64 v10, v10, v117, s4
	;; [unrolled: 3-line block ×4, first 2 shown]
	s_delay_alu instid0(VALU_DEP_3) | instskip(NEXT) | instid1(VALU_DEP_2)
	v_cndmask_b32_e64 v8, v8, v70, s6
	v_cndmask_b32_e64 v5, v5, v66, s7
	s_delay_alu instid0(VALU_DEP_2) | instskip(NEXT) | instid1(VALU_DEP_2)
	v_cndmask_b32_e64 v8, v8, v71, s7
	v_cndmask_b32_e64 v5, v5, v44, s8
	s_delay_alu instid0(VALU_DEP_2) | instskip(NEXT) | instid1(VALU_DEP_2)
	v_cndmask_b32_e64 v8, v8, v35, s8
	v_cndmask_b32_e64 v19, v5, v32, s9
	scratch_load_b32 v5, off, off offset:100
	v_cndmask_b32_e64 v18, v8, v16, s9
	v_cndmask_b32_e64 v33, v43, v16, s19
	s_delay_alu instid0(VALU_DEP_2)
	v_mul_f64 v[18:19], v[18:19], v[54:55]
	s_waitcnt vmcnt(0)
	v_cmp_eq_u32_e64 s22, 5, v5
	v_cmp_eq_u32_e64 s20, 7, v5
	;; [unrolled: 1-line block ×3, first 2 shown]
	v_cmp_eq_u32_e32 vcc_lo, 8, v5
	v_cmp_eq_u32_e64 s17, 3, v5
	v_cmp_eq_u32_e64 s21, 6, v5
	v_fma_f64 v[67:68], v[33:34], v[64:65], v[18:19]
	s_delay_alu instid0(VALU_DEP_1) | instskip(NEXT) | instid1(VALU_DEP_2)
	v_cndmask_b32_e64 v18, v70, v67, s22
	v_cndmask_b32_e64 v19, v69, v68, s22
	v_fma_f64 v[69:70], v[62:63], v[64:65], v[23:24]
	v_cndmask_b32_e64 v14, v35, v67, s20
	v_cndmask_b32_e64 v34, v111, v68, s17
	;; [unrolled: 1-line block ×9, first 2 shown]
	s_clause 0x7
	scratch_load_b128 v[194:197], off, off offset:1008
	scratch_load_b128 v[198:201], off, off offset:1024
	;; [unrolled: 1-line block ×8, first 2 shown]
	v_cndmask_b32_e32 v8, v16, v67, vcc_lo
	v_cndmask_b32_e64 v24, v72, v69, s21
	v_cndmask_b32_e64 v36, v79, v69, s17
	;; [unrolled: 1-line block ×8, first 2 shown]
	s_waitcnt vmcnt(5)
	v_mov_b32_e32 v11, v205
	s_clause 0x7
	scratch_load_b128 v[194:197], off, off offset:2032
	scratch_load_b128 v[198:201], off, off offset:2048
	;; [unrolled: 1-line block ×8, first 2 shown]
	v_cndmask_b32_e64 v10, v10, v11, s6
	s_waitcnt vmcnt(5)
	v_mov_b32_e32 v48, v204
	s_clause 0x7
	scratch_load_b128 v[194:197], off, off offset:3952
	scratch_load_b128 v[198:201], off, off offset:3968
	scratch_load_b128 v[202:205], off, off offset:3984
	scratch_load_b128 v[206:209], off, off offset:4000
	scratch_load_b128 v[210:213], off, off offset:4016
	scratch_load_b128 v[214:217], off, off offset:4032
	scratch_load_b128 v[218:221], off, off offset:4048
	scratch_load_b128 v[222:225], off, off offset:4064
	v_cndmask_b32_e64 v39, v39, v48, s6
	s_waitcnt vmcnt(4)
	v_mov_b32_e32 v40, v207
	s_clause 0x7
	scratch_load_b128 v[194:197], off, off offset:1904
	scratch_load_b128 v[198:201], off, off offset:1920
	;; [unrolled: 1-line block ×8, first 2 shown]
	v_cndmask_b32_e32 v22, v32, v68, vcc_lo
	v_cndmask_b32_e64 v32, v110, v67, s17
	v_cndmask_b32_e64 v10, v10, v40, s7
	s_waitcnt vmcnt(4)
	v_mov_b32_e32 v47, v206
	s_clause 0x7
	scratch_load_b128 v[194:197], off, off offset:1520
	scratch_load_b128 v[198:201], off, off offset:1536
	scratch_load_b128 v[202:205], off, off offset:1552
	scratch_load_b128 v[206:209], off, off offset:1568
	scratch_load_b128 v[210:213], off, off offset:1584
	scratch_load_b128 v[214:217], off, off offset:1600
	scratch_load_b128 v[218:221], off, off offset:1616
	scratch_load_b128 v[222:225], off, off offset:1632
	v_cndmask_b32_e64 v39, v39, v47, s7
	s_waitcnt vmcnt(4)
	v_mov_b32_e32 v16, v209
	s_clause 0x7
	scratch_load_b128 v[194:197], off, off offset:1776
	scratch_load_b128 v[198:201], off, off offset:1792
	scratch_load_b128 v[202:205], off, off offset:1808
	scratch_load_b128 v[206:209], off, off offset:1824
	scratch_load_b128 v[210:213], off, off offset:1840
	scratch_load_b128 v[214:217], off, off offset:1856
	scratch_load_b128 v[218:221], off, off offset:1872
	scratch_load_b128 v[222:225], off, off offset:1888
	;; [unrolled: 12-line block ×3, first 2 shown]
	v_cndmask_b32_e32 v26, v61, v69, vcc_lo
	v_cndmask_b32_e64 v39, v39, v46, s8
	s_waitcnt vmcnt(3)
	v_mov_b32_e32 v17, v211
	s_clause 0x7
	scratch_load_b128 v[194:197], off, off offset:1648
	scratch_load_b128 v[198:201], off, off offset:1664
	;; [unrolled: 1-line block ×8, first 2 shown]
	v_cndmask_b32_e32 v30, v75, v70, vcc_lo
	v_cndmask_b32_e64 v43, v10, v17, s9
	v_cndmask_b32_e64 v10, v253, v243, s10
	s_delay_alu instid0(VALU_DEP_1) | instskip(NEXT) | instid1(VALU_DEP_1)
	v_cndmask_b32_e64 v10, v10, v229, s11
	v_cndmask_b32_e64 v10, v10, v117, s12
	s_delay_alu instid0(VALU_DEP_1) | instskip(NEXT) | instid1(VALU_DEP_1)
	;; [unrolled: 3-line block ×3, first 2 shown]
	v_cndmask_b32_e64 v10, v10, v40, s15
	v_cndmask_b32_e64 v10, v10, v16, s16
	s_delay_alu instid0(VALU_DEP_1) | instskip(SKIP_2) | instid1(VALU_DEP_2)
	v_cndmask_b32_e64 v45, v10, v17, s19
	v_cndmask_b32_e64 v10, v237, v235, s2
	v_cmp_eq_u32_e64 s2, 6, v143
	v_cndmask_b32_e64 v10, v10, v255, s3
	v_cmp_eq_u32_e64 s3, 4, v143
	s_delay_alu instid0(VALU_DEP_2) | instskip(SKIP_1) | instid1(VALU_DEP_2)
	v_cndmask_b32_e64 v10, v10, v183, s4
	v_cmp_eq_u32_e64 s4, 8, v143
	v_cndmask_b32_e64 v10, v10, v193, s5
	v_cmp_eq_u32_e64 s5, 7, v143
	s_waitcnt vmcnt(3)
	v_mov_b32_e32 v41, v210
	s_delay_alu instid0(VALU_DEP_1) | instskip(SKIP_1) | instid1(VALU_DEP_2)
	v_cndmask_b32_e64 v42, v39, v41, s9
	v_cndmask_b32_e64 v39, v252, v242, s10
	v_mul_f64 v[42:43], v[42:43], v[54:55]
	s_delay_alu instid0(VALU_DEP_2) | instskip(NEXT) | instid1(VALU_DEP_1)
	v_cndmask_b32_e64 v39, v39, v228, s11
	v_cndmask_b32_e64 v39, v39, v116, s12
	s_delay_alu instid0(VALU_DEP_1) | instskip(NEXT) | instid1(VALU_DEP_1)
	v_cndmask_b32_e64 v39, v39, v126, s13
	v_cndmask_b32_e64 v39, v39, v48, s14
	s_delay_alu instid0(VALU_DEP_1) | instskip(NEXT) | instid1(VALU_DEP_1)
	;; [unrolled: 3-line block ×3, first 2 shown]
	v_cndmask_b32_e64 v44, v39, v41, s19
	v_fma_f64 v[71:72], v[44:45], v[64:65], v[42:43]
	s_delay_alu instid0(VALU_DEP_1) | instskip(SKIP_1) | instid1(VALU_DEP_3)
	v_cndmask_b32_e64 v42, v47, v71, s21
	v_cndmask_b32_e64 v39, v48, v71, s22
	;; [unrolled: 1-line block ×6, first 2 shown]
	v_cndmask_b32_e32 v48, v17, v72, vcc_lo
	v_cndmask_b32_e64 v17, v127, v72, s18
	s_clause 0x7
	scratch_load_b128 v[110:113], off, off offset:368
	scratch_load_b128 v[114:117], off, off offset:384
	;; [unrolled: 1-line block ×8, first 2 shown]
	v_cndmask_b32_e64 v45, v11, v72, s22
	v_cndmask_b32_e32 v44, v41, v71, vcc_lo
	v_cndmask_b32_e64 v43, v46, v71, s20
	v_cndmask_b32_e64 v46, v40, v72, s21
	s_waitcnt vmcnt(5)
	v_mov_b32_e32 v11, v121
	s_clause 0x7
	scratch_load_b128 v[110:113], off, off offset:240
	scratch_load_b128 v[114:117], off, off offset:256
	;; [unrolled: 1-line block ×8, first 2 shown]
	v_cndmask_b32_e64 v10, v10, v11, s6
	v_cmp_eq_u32_e64 s6, 5, v143
	s_waitcnt vmcnt(4)
	v_mov_b32_e32 v41, v123
	s_clause 0x7
	scratch_load_b128 v[110:113], off, off offset:752
	scratch_load_b128 v[114:117], off, off offset:768
	;; [unrolled: 1-line block ×8, first 2 shown]
	v_cndmask_b32_e64 v10, v10, v41, s7
	s_waitcnt vmcnt(4)
	v_mov_b32_e32 v58, v122
	s_clause 0x7
	scratch_load_b128 v[110:113], off, off offset:112
	scratch_load_b128 v[114:117], off, off offset:128
	;; [unrolled: 1-line block ×8, first 2 shown]
	v_cndmask_b32_e64 v49, v49, v58, s7
	v_cmp_eq_u32_e64 s7, 3, v143
	s_waitcnt vmcnt(4)
	v_mov_b32_e32 v40, v125
	s_clause 0x7
	scratch_load_b128 v[110:113], off, off offset:624
	scratch_load_b128 v[114:117], off, off offset:640
	;; [unrolled: 1-line block ×8, first 2 shown]
	v_cndmask_b32_e64 v10, v10, v40, s8
	s_delay_alu instid0(VALU_DEP_1) | instskip(SKIP_1) | instid1(VALU_DEP_1)
	v_cndmask_b32_e64 v57, v10, v101, s9
	v_cndmask_b32_e64 v10, v237, v235, s10
	v_cndmask_b32_e64 v10, v10, v255, s11
	s_delay_alu instid0(VALU_DEP_1) | instskip(NEXT) | instid1(VALU_DEP_1)
	v_cndmask_b32_e64 v10, v10, v183, s12
	v_cndmask_b32_e64 v10, v10, v193, s13
	s_delay_alu instid0(VALU_DEP_1) | instskip(NEXT) | instid1(VALU_DEP_1)
	v_cndmask_b32_e64 v10, v10, v11, s14
	v_cndmask_b32_e64 v10, v10, v41, s15
	s_delay_alu instid0(VALU_DEP_1)
	v_cndmask_b32_e64 v10, v10, v40, s16
	s_waitcnt vmcnt(4)
	v_mov_b32_e32 v51, v124
	s_clause 0x7
	scratch_load_b128 v[110:113], off, off offset:496
	scratch_load_b128 v[114:117], off, off offset:512
	;; [unrolled: 1-line block ×8, first 2 shown]
	v_cndmask_b32_e64 v49, v49, v51, s8
	v_cmp_eq_u32_e64 s8, 2, v143
	s_waitcnt vmcnt(3)
	v_mov_b32_e32 v50, v126
	s_delay_alu instid0(VALU_DEP_1) | instskip(SKIP_3) | instid1(VALU_DEP_4)
	v_cndmask_b32_e64 v56, v49, v50, s9
	v_cndmask_b32_e64 v49, v236, v234, s10
	v_cmp_eq_u32_e64 s9, 3, v85
	v_cmp_eq_u32_e64 s10, 5, v85
	v_mul_f64 v[54:55], v[56:57], v[54:55]
	s_delay_alu instid0(VALU_DEP_4) | instskip(SKIP_2) | instid1(VALU_DEP_3)
	v_cndmask_b32_e64 v49, v49, v254, s11
	v_cndmask_b32_e64 v57, v10, v101, s19
	v_cmp_eq_u32_e64 s11, 7, v85
	v_cndmask_b32_e64 v49, v49, v182, s12
	v_cmp_eq_u32_e64 s12, 4, v85
	s_delay_alu instid0(VALU_DEP_2) | instskip(SKIP_1) | instid1(VALU_DEP_2)
	v_cndmask_b32_e64 v49, v49, v192, s13
	v_cmp_eq_u32_e64 s13, 6, v85
	v_cndmask_b32_e64 v49, v49, v154, s14
	v_cmp_eq_u32_e64 s14, 8, v85
	s_delay_alu instid0(VALU_DEP_2) | instskip(SKIP_1) | instid1(VALU_DEP_2)
	;; [unrolled: 5-line block ×3, first 2 shown]
	v_cndmask_b32_e64 v56, v49, v50, s19
	v_cmp_eq_u32_e64 s19, 1, v143
	v_fma_f64 v[73:74], v[56:57], v[64:65], v[54:55]
	s_delay_alu instid0(VALU_DEP_1) | instskip(SKIP_1) | instid1(VALU_DEP_3)
	v_cndmask_b32_e64 v53, v51, v73, s20
	v_cndmask_b32_e64 v52, v58, v73, s21
	;; [unrolled: 1-line block ×4, first 2 shown]
	v_cmp_eq_u32_e64 s20, 1, v5
	v_cmp_eq_u32_e64 s21, 0, v5
	v_cndmask_b32_e64 v49, v154, v73, s22
	v_cndmask_b32_e64 v55, v11, v74, s22
	v_cmp_eq_u32_e64 s22, 2, v5
	v_cndmask_b32_e64 v59, v240, v69, s20
	v_cndmask_b32_e64 v62, v241, v70, s20
	;; [unrolled: 1-line block ×13, first 2 shown]
	v_cndmask_b32_e32 v54, v50, v73, vcc_lo
	v_cndmask_b32_e64 v69, v69, v67, s16
	v_cndmask_b32_e64 v70, v70, v66, s16
	;; [unrolled: 1-line block ×4, first 2 shown]
	v_cndmask_b32_e32 v58, v101, v74, vcc_lo
	v_cndmask_b32_e64 v69, v69, v38, s9
	v_cndmask_b32_e64 v70, v70, v36, s9
	;; [unrolled: 1-line block ×31, first 2 shown]
	v_add_f64 v[77:78], -v[69:70], 0
	v_cndmask_b32_e64 v92, v182, v73, s17
	v_add_f64 v[79:80], v[75:76], -v[69:70]
	v_cndmask_b32_e64 v93, v254, v73, s22
	v_cndmask_b32_e64 v94, v234, v73, s20
	;; [unrolled: 1-line block ×13, first 2 shown]
	s_delay_alu instid0(VALU_DEP_4) | instskip(NEXT) | instid1(VALU_DEP_4)
	v_cndmask_b32_e64 v72, v72, v89, s8
	v_cndmask_b32_e64 v100, v100, v93, s8
	v_div_scale_f64 v[81:82], null, v[79:80], v[79:80], v[77:78]
	v_div_scale_f64 v[87:88], vcc_lo, v[77:78], v[79:80], v[77:78]
	s_delay_alu instid0(VALU_DEP_2) | instskip(SKIP_2) | instid1(VALU_DEP_1)
	v_rcp_f64_e32 v[83:84], v[81:82]
	s_waitcnt_depctr 0xfff
	v_fma_f64 v[85:86], -v[81:82], v[83:84], 1.0
	v_fma_f64 v[83:84], v[83:84], v[85:86], v[83:84]
	s_delay_alu instid0(VALU_DEP_1) | instskip(NEXT) | instid1(VALU_DEP_1)
	v_fma_f64 v[85:86], -v[81:82], v[83:84], 1.0
	v_fma_f64 v[83:84], v[83:84], v[85:86], v[83:84]
	s_delay_alu instid0(VALU_DEP_1) | instskip(NEXT) | instid1(VALU_DEP_1)
	v_mul_f64 v[85:86], v[87:88], v[83:84]
	v_fma_f64 v[81:82], -v[81:82], v[85:86], v[87:88]
	v_cndmask_b32_e64 v87, v242, v71, s20
	v_cndmask_b32_e64 v88, v252, v71, s21
	s_delay_alu instid0(VALU_DEP_3)
	v_div_fmas_f64 v[81:82], v[81:82], v[83:84], v[85:86]
	v_cndmask_b32_e64 v84, v247, v68, s20
	v_cndmask_b32_e64 v85, v249, v68, s21
	;; [unrolled: 1-line block ×5, first 2 shown]
	s_delay_alu instid0(VALU_DEP_4) | instskip(NEXT) | instid1(VALU_DEP_3)
	v_cndmask_b32_e64 v50, v85, v84, s15
	v_cndmask_b32_e64 v71, v71, v65, s8
	s_delay_alu instid0(VALU_DEP_3) | instskip(NEXT) | instid1(VALU_DEP_2)
	v_cndmask_b32_e64 v83, v83, v97, s8
	v_cndmask_b32_e64 v71, v71, v32, s7
	s_delay_alu instid0(VALU_DEP_1)
	v_cndmask_b32_e64 v104, v71, v31, s3
	v_div_fixup_f64 v[77:78], v[81:82], v[79:80], v[77:78]
	v_cndmask_b32_e64 v81, v109, v68, s22
	v_cndmask_b32_e64 v79, v192, v73, s18
	;; [unrolled: 1-line block ×37, first 2 shown]
	v_add_f64 v[40:41], -v[77:78], 1.0
	v_cndmask_b32_e64 v102, v68, v33, s3
	v_cndmask_b32_e64 v73, v73, v47, s11
	;; [unrolled: 1-line block ×5, first 2 shown]
	s_delay_alu instid0(VALU_DEP_4) | instskip(SKIP_1) | instid1(VALU_DEP_4)
	v_cndmask_b32_e64 v71, v73, v48, s14
	v_cndmask_b32_e64 v73, v102, v19, s6
	;; [unrolled: 1-line block ×3, first 2 shown]
	s_delay_alu instid0(VALU_DEP_4) | instskip(SKIP_1) | instid1(VALU_DEP_2)
	v_cndmask_b32_e64 v101, v101, v53, s11
	v_cndmask_b32_e64 v102, v72, v7, s7
	;; [unrolled: 1-line block ×3, first 2 shown]
	s_delay_alu instid0(VALU_DEP_2)
	v_cndmask_b32_e64 v102, v102, v17, s3
	v_mul_f64 v[50:51], v[50:51], v[40:41]
	v_mul_f64 v[68:69], v[69:70], v[40:41]
	v_cndmask_b32_e64 v70, v74, v44, s14
	v_cndmask_b32_e64 v74, v104, v18, s6
	v_cndmask_b32_e64 v104, v73, v20, s2
	v_cndmask_b32_e64 v73, v82, v58, s14
	v_cndmask_b32_e64 v82, v103, v6, s7
	v_mul_f64 v[70:71], v[70:71], v[40:41]
	v_cndmask_b32_e64 v74, v74, v15, s2
	v_cndmask_b32_e64 v101, v104, v21, s5
	v_mul_f64 v[40:41], v[72:73], v[40:41]
	v_cndmask_b32_e64 v82, v82, v16, s3
	s_delay_alu instid0(VALU_DEP_4) | instskip(NEXT) | instid1(VALU_DEP_4)
	v_cndmask_b32_e64 v74, v74, v14, s5
	v_cndmask_b32_e64 v73, v101, v22, s4
	s_delay_alu instid0(VALU_DEP_3) | instskip(NEXT) | instid1(VALU_DEP_3)
	v_cndmask_b32_e64 v82, v82, v39, s6
	v_cndmask_b32_e64 v72, v74, v8, s4
	;; [unrolled: 1-line block ×6, first 2 shown]
	s_delay_alu instid0(VALU_DEP_1)
	v_cndmask_b32_e64 v82, v82, v43, s5
	v_fma_f64 v[72:73], v[72:73], v[77:78], v[50:51]
	v_cndmask_b32_e64 v50, v74, v80, s3
	v_cndmask_b32_e64 v51, v83, v79, s3
	;; [unrolled: 1-line block ×3, first 2 shown]
	v_fma_f64 v[68:69], v[75:76], v[77:78], v[68:69]
	s_delay_alu instid0(VALU_DEP_4) | instskip(NEXT) | instid1(VALU_DEP_4)
	v_cndmask_b32_e64 v50, v50, v55, s6
	v_cndmask_b32_e64 v51, v51, v49, s6
	s_delay_alu instid0(VALU_DEP_4) | instskip(NEXT) | instid1(VALU_DEP_3)
	v_cndmask_b32_e64 v74, v74, v47, s5
	v_cndmask_b32_e64 v75, v50, v56, s2
	s_delay_alu instid0(VALU_DEP_3) | instskip(NEXT) | instid1(VALU_DEP_3)
	v_cndmask_b32_e64 v76, v51, v52, s2
	v_cndmask_b32_e64 v51, v74, v48, s4
	;; [unrolled: 1-line block ×3, first 2 shown]
	s_delay_alu instid0(VALU_DEP_4) | instskip(NEXT) | instid1(VALU_DEP_4)
	v_cndmask_b32_e64 v74, v75, v57, s5
	v_cndmask_b32_e64 v75, v76, v53, s5
	v_add_nc_u32_e64 v76, 16, 40
	s_delay_alu instid0(VALU_DEP_4) | instskip(NEXT) | instid1(VALU_DEP_4)
	v_fma_f64 v[70:71], v[50:51], v[77:78], v[70:71]
	v_cndmask_b32_e64 v51, v74, v58, s4
	s_delay_alu instid0(VALU_DEP_4) | instskip(NEXT) | instid1(VALU_DEP_1)
	v_cndmask_b32_e64 v50, v75, v54, s4
	v_fma_f64 v[74:75], v[50:51], v[77:78], v[40:41]
	v_lshlrev_b32_e32 v10, 2, v5
	s_delay_alu instid0(VALU_DEP_1)
	v_add3_u32 v10, 16, v10, 40
	scratch_load_b32 v10, v10, off
	s_waitcnt vmcnt(0)
	v_lshlrev_b32_e32 v4, 2, v10
	v_cmp_eq_u32_e32 vcc_lo, 3, v10
	v_cmp_eq_u32_e64 s2, 4, v10
	v_cmp_eq_u32_e64 s3, 2, v10
	;; [unrolled: 1-line block ×3, first 2 shown]
	v_add3_u32 v4, 16, v4, 40
	v_cndmask_b32_e32 v110, v32, v72, vcc_lo
	v_cndmask_b32_e64 v82, v31, v72, s2
	v_dual_cndmask_b32 v32, v38, v69 :: v_dual_cndmask_b32 v31, v36, v68
	scratch_load_b32 v4, v4, off
	v_cndmask_b32_e64 v83, v33, v73, s2
	v_cndmask_b32_e32 v111, v34, v73, vcc_lo
	v_cndmask_b32_e64 v203, v37, v69, s2
	v_cndmask_b32_e64 v202, v35, v68, s2
	v_dual_cndmask_b32 v117, v7, v71 :: v_dual_cndmask_b32 v116, v6, v70
	v_cndmask_b32_e32 v183, v96, v75, vcc_lo
	v_cndmask_b32_e32 v182, v92, v74, vcc_lo
	v_cmp_eq_u32_e32 vcc_lo, 8, v10
	v_cndmask_b32_e64 v127, v17, v71, s2
	v_cmp_eq_u32_e64 s5, 0, v10
	v_cndmask_b32_e64 v109, v81, v73, s3
	v_cndmask_b32_e64 v108, v65, v72, s3
	v_cndmask_b32_e32 v17, v22, v73, vcc_lo
	v_cndmask_b32_e64 v247, v84, v73, s4
	v_cndmask_b32_e64 v246, v64, v72, s4
	v_cndmask_b32_e64 v251, v67, v69, s3
	v_cndmask_b32_e64 v250, v66, v68, s3
	v_cndmask_b32_e64 v241, v62, v69, s4
	v_cndmask_b32_e64 v240, v59, v68, s4
	v_cndmask_b32_e64 v126, v16, v70, s2
	v_cndmask_b32_e64 v229, v89, v71, s3
	v_cndmask_b32_e64 v228, v86, v70, s3
	v_cndmask_b32_e64 v243, v90, v71, s4
	v_cndmask_b32_e64 v242, v87, v70, s4
	v_cndmask_b32_e64 v193, v80, v75, s2
	v_cndmask_b32_e64 v192, v79, v74, s2
	v_cndmask_b32_e64 v255, v97, v75, s3
	v_cndmask_b32_e64 v254, v93, v74, s3
	v_cndmask_b32_e64 v235, v98, v75, s4
	v_cndmask_b32_e64 v234, v94, v74, s4
	v_cmp_eq_u32_e64 s2, 7, v10
	v_cmp_eq_u32_e64 s3, 6, v10
	;; [unrolled: 1-line block ×3, first 2 shown]
	v_cndmask_b32_e64 v249, v85, v73, s5
	v_cndmask_b32_e64 v248, v63, v72, s5
	;; [unrolled: 1-line block ×8, first 2 shown]
	s_waitcnt vmcnt(0)
	s_clause 0x10
	scratch_store_b32 off, v4, off offset:100
	scratch_store_b128 off, v[25:28], off offset:880
	scratch_store_b128 off, v[29:32], off offset:896
	;; [unrolled: 1-line block ×16, first 2 shown]
	v_cndmask_b32_e64 v154, v49, v74, s4
	v_cndmask_b32_e32 v16, v8, v72, vcc_lo
	s_clause 0x7
	scratch_store_b128 off, v[0:3], off offset:3824
	scratch_store_b128 off, v[4:7], off offset:3840
	scratch_store_b128 off, v[8:11], off offset:3856
	scratch_store_b128 off, v[12:15], off offset:3872
	scratch_store_b128 off, v[16:19], off offset:3888
	scratch_store_b128 off, v[20:23], off offset:3904
	scratch_store_b128 off, v[24:27], off offset:3920
	scratch_store_b128 off, v[28:31], off offset:3936
	v_cndmask_b32_e64 v16, v21, v73, s2
	s_clause 0x7
	scratch_store_b128 off, v[1:4], off offset:2160
	scratch_store_b128 off, v[5:8], off offset:2176
	scratch_store_b128 off, v[9:12], off offset:2192
	scratch_store_b128 off, v[13:16], off offset:2208
	scratch_store_b128 off, v[17:20], off offset:2224
	scratch_store_b128 off, v[21:24], off offset:2240
	scratch_store_b128 off, v[25:28], off offset:2256
	scratch_store_b128 off, v[29:32], off offset:2272
	v_cndmask_b32_e64 v14, v14, v72, s2
	;; [unrolled: 10-line block ×6, first 2 shown]
	s_clause 0x7
	scratch_store_b128 off, v[1:4], off offset:2544
	scratch_store_b128 off, v[5:8], off offset:2560
	;; [unrolled: 1-line block ×8, first 2 shown]
	v_cndmask_b32_e32 v17, v30, v69, vcc_lo
	v_cndmask_b32_e32 v101, v58, v75, vcc_lo
	s_clause 0x7
	scratch_store_b128 off, v[0:3], off offset:2928
	scratch_store_b128 off, v[4:7], off offset:2944
	;; [unrolled: 1-line block ×8, first 2 shown]
	v_cndmask_b32_e32 v16, v26, v68, vcc_lo
	s_clause 0x7
	scratch_store_b128 off, v[0:3], off offset:3184
	scratch_store_b128 off, v[4:7], off offset:3200
	scratch_store_b128 off, v[8:11], off offset:3216
	scratch_store_b128 off, v[12:15], off offset:3232
	scratch_store_b128 off, v[16:19], off offset:3248
	scratch_store_b128 off, v[20:23], off offset:3264
	scratch_store_b128 off, v[24:27], off offset:3280
	scratch_store_b128 off, v[28:31], off offset:3296
	v_cndmask_b32_e64 v15, v29, v69, s2
	s_clause 0x7
	scratch_store_b128 off, v[0:3], off offset:3056
	scratch_store_b128 off, v[4:7], off offset:3072
	scratch_store_b128 off, v[8:11], off offset:3088
	scratch_store_b128 off, v[12:15], off offset:3104
	scratch_store_b128 off, v[16:19], off offset:3120
	scratch_store_b128 off, v[20:23], off offset:3136
	scratch_store_b128 off, v[24:27], off offset:3152
	scratch_store_b128 off, v[28:31], off offset:3168
	v_cndmask_b32_e64 v14, v25, v68, s2
	;; [unrolled: 10-line block ×6, first 2 shown]
	s_clause 0x7
	scratch_store_b128 off, v[1:4], off offset:3568
	scratch_store_b128 off, v[5:8], off offset:3584
	;; [unrolled: 1-line block ×8, first 2 shown]
	v_cndmask_b32_e32 v17, v48, v71, vcc_lo
	s_clause 0x7
	scratch_store_b128 off, v[0:3], off offset:1392
	scratch_store_b128 off, v[4:7], off offset:1408
	;; [unrolled: 1-line block ×8, first 2 shown]
	v_cndmask_b32_e32 v16, v44, v70, vcc_lo
	s_clause 0x7
	scratch_store_b128 off, v[0:3], off offset:1648
	scratch_store_b128 off, v[4:7], off offset:1664
	scratch_store_b128 off, v[8:11], off offset:1680
	scratch_store_b128 off, v[12:15], off offset:1696
	scratch_store_b128 off, v[16:19], off offset:1712
	scratch_store_b128 off, v[20:23], off offset:1728
	scratch_store_b128 off, v[24:27], off offset:1744
	scratch_store_b128 off, v[28:31], off offset:1760
	v_cndmask_b32_e64 v15, v47, v71, s2
	s_clause 0x7
	scratch_store_b128 off, v[0:3], off offset:1520
	scratch_store_b128 off, v[4:7], off offset:1536
	scratch_store_b128 off, v[8:11], off offset:1552
	scratch_store_b128 off, v[12:15], off offset:1568
	scratch_store_b128 off, v[16:19], off offset:1584
	scratch_store_b128 off, v[20:23], off offset:1600
	scratch_store_b128 off, v[24:27], off offset:1616
	scratch_store_b128 off, v[28:31], off offset:1632
	v_cndmask_b32_e64 v14, v43, v70, s2
	;; [unrolled: 10-line block ×6, first 2 shown]
	s_clause 0x7
	scratch_store_b128 off, v[1:4], off offset:2032
	scratch_store_b128 off, v[5:8], off offset:2048
	;; [unrolled: 1-line block ×8, first 2 shown]
	v_cndmask_b32_e32 v16, v54, v74, vcc_lo
	s_clause 0x7
	scratch_store_b128 off, v[0:3], off offset:496
	scratch_store_b128 off, v[4:7], off offset:512
	scratch_store_b128 off, v[8:11], off offset:528
	scratch_store_b128 off, v[12:15], off offset:544
	scratch_store_b128 off, v[16:19], off offset:560
	scratch_store_b128 off, v[20:23], off offset:576
	scratch_store_b128 off, v[24:27], off offset:592
	scratch_store_b128 off, v[28:31], off offset:608
	v_cndmask_b32_e64 v15, v57, v75, s2
	s_clause 0x7
	scratch_store_b128 off, v[0:3], off offset:112
	scratch_store_b128 off, v[4:7], off offset:128
	scratch_store_b128 off, v[8:11], off offset:144
	scratch_store_b128 off, v[12:15], off offset:160
	scratch_store_b128 off, v[16:19], off offset:176
	scratch_store_b128 off, v[20:23], off offset:192
	scratch_store_b128 off, v[24:27], off offset:208
	scratch_store_b128 off, v[28:31], off offset:224
	v_cndmask_b32_e64 v14, v53, v74, s2
	;; [unrolled: 10-line block ×5, first 2 shown]
	s_clause 0x7
	scratch_store_b128 off, v[0:3], off offset:368
	scratch_store_b128 off, v[4:7], off offset:384
	;; [unrolled: 1-line block ×8, first 2 shown]
.LBB2_44:
	s_or_b32 exec_lo, exec_lo, s26
	s_mov_b32 s2, 0
	scratch_store_b32 off, v144, off offset:96
	s_mov_b32 s3, exec_lo
	s_clause 0x7
	scratch_load_b128 v[14:17], off, off offset:3952
	scratch_load_b128 v[18:21], off, off offset:3968
	;; [unrolled: 1-line block ×8, first 2 shown]
	s_and_b32 s0, s3, s0
	s_waitcnt vmcnt(4)
	v_mov_b32_e32 v14, v27
	s_mov_b32 exec_lo, s0
	s_cbranch_execz .LBB2_54
; %bb.45:
	v_cmp_gt_f64_e32 vcc_lo, 0, v[106:107]
	s_mov_b32 s4, 0
	s_branch .LBB2_47
.LBB2_46:                               ;   in Loop: Header=BB2_47 Depth=1
	s_or_b32 exec_lo, exec_lo, s0
	v_cmp_gt_i32_e64 s0, 0, v2
	v_mov_b32_e32 v105, v2
	s_delay_alu instid0(VALU_DEP_2) | instskip(NEXT) | instid1(SALU_CYCLE_1)
	s_or_b32 s4, s0, s4
	s_and_not1_b32 exec_lo, exec_lo, s4
	s_cbranch_execz .LBB2_53
.LBB2_47:                               ; =>This Inner Loop Header: Depth=1
	s_clause 0x7
	scratch_load_b128 v[14:17], off, off offset:880
	scratch_load_b128 v[18:21], off, off offset:896
	scratch_load_b128 v[22:25], off, off offset:912
	scratch_load_b128 v[26:29], off, off offset:928
	scratch_load_b128 v[30:33], off, off offset:944
	scratch_load_b128 v[34:37], off, off offset:960
	scratch_load_b128 v[38:41], off, off offset:976
	scratch_load_b128 v[42:45], off, off offset:992
	v_cmp_eq_u32_e64 s0, 1, v105
	v_cmp_eq_u32_e64 s2, 2, v105
	s_delay_alu instid0(VALU_DEP_2) | instskip(SKIP_2) | instid1(VALU_DEP_3)
	v_cndmask_b32_e64 v2, v245, v241, s0
	v_cndmask_b32_e64 v3, v244, v240, s0
	v_cmp_eq_u32_e64 s0, 3, v105
	v_cndmask_b32_e64 v2, v2, v251, s2
	s_delay_alu instid0(VALU_DEP_3)
	v_cndmask_b32_e64 v3, v3, v250, s2
	s_mov_b32 s2, 0
	s_waitcnt vmcnt(6)
	v_dual_mov_b32 v8, v20 :: v_dual_mov_b32 v9, v21
	s_clause 0x7
	scratch_load_b128 v[14:17], off, off offset:1264
	scratch_load_b128 v[18:21], off, off offset:1280
	;; [unrolled: 1-line block ×8, first 2 shown]
	v_cndmask_b32_e64 v3, v3, v8, s0
	v_cndmask_b32_e64 v2, v2, v9, s0
	v_cmp_eq_u32_e64 s0, 4, v105
	s_delay_alu instid0(VALU_DEP_1) | instskip(NEXT) | instid1(VALU_DEP_4)
	v_cndmask_b32_e64 v2, v2, v203, s0
	v_cndmask_b32_e64 v3, v3, v202, s0
	v_cmp_eq_u32_e64 s0, 5, v105
	s_waitcnt vmcnt(5)
	s_delay_alu instid0(VALU_DEP_1)
	v_cndmask_b32_e64 v2, v2, v25, s0
	s_clause 0x7
	scratch_load_b128 v[14:17], off, off offset:3568
	scratch_load_b128 v[18:21], off, off offset:3584
	scratch_load_b128 v[22:25], off, off offset:3600
	scratch_load_b128 v[26:29], off, off offset:3616
	scratch_load_b128 v[30:33], off, off offset:3632
	scratch_load_b128 v[34:37], off, off offset:3648
	scratch_load_b128 v[38:41], off, off offset:3664
	scratch_load_b128 v[42:45], off, off offset:3680
	s_waitcnt vmcnt(5)
	v_cndmask_b32_e64 v3, v3, v24, s0
	s_clause 0x7
	scratch_load_b128 v[14:17], off, off offset:1136
	scratch_load_b128 v[18:21], off, off offset:1152
	scratch_load_b128 v[22:25], off, off offset:1168
	scratch_load_b128 v[26:29], off, off offset:1184
	scratch_load_b128 v[30:33], off, off offset:1200
	scratch_load_b128 v[34:37], off, off offset:1216
	scratch_load_b128 v[38:41], off, off offset:1232
	scratch_load_b128 v[42:45], off, off offset:1248
	v_cmp_eq_u32_e64 s0, 6, v105
	s_waitcnt vmcnt(4)
	s_delay_alu instid0(VALU_DEP_1)
	v_cndmask_b32_e64 v2, v2, v27, s0
	s_clause 0x7
	scratch_load_b128 v[14:17], off, off offset:3440
	scratch_load_b128 v[18:21], off, off offset:3456
	scratch_load_b128 v[22:25], off, off offset:3472
	scratch_load_b128 v[26:29], off, off offset:3488
	scratch_load_b128 v[30:33], off, off offset:3504
	scratch_load_b128 v[34:37], off, off offset:3520
	scratch_load_b128 v[38:41], off, off offset:3536
	scratch_load_b128 v[42:45], off, off offset:3552
	s_waitcnt vmcnt(4)
	v_cndmask_b32_e64 v3, v3, v26, s0
	s_clause 0x7
	scratch_load_b128 v[14:17], off, off offset:3056
	scratch_load_b128 v[18:21], off, off offset:3072
	scratch_load_b128 v[22:25], off, off offset:3088
	scratch_load_b128 v[26:29], off, off offset:3104
	scratch_load_b128 v[30:33], off, off offset:3120
	scratch_load_b128 v[34:37], off, off offset:3136
	scratch_load_b128 v[38:41], off, off offset:3152
	scratch_load_b128 v[42:45], off, off offset:3168
	;; [unrolled: 24-line block ×3, first 2 shown]
	v_cmp_eq_u32_e64 s0, 8, v105
	s_waitcnt vmcnt(3)
	s_delay_alu instid0(VALU_DEP_1)
	v_cndmask_b32_e64 v3, v2, v31, s0
	s_clause 0x7
	scratch_load_b128 v[14:17], off, off offset:3184
	scratch_load_b128 v[18:21], off, off offset:3200
	;; [unrolled: 1-line block ×8, first 2 shown]
	s_waitcnt vmcnt(3)
	v_cndmask_b32_e64 v2, v4, v30, s0
	v_lshl_add_u32 v4, v105, 2, v76
	s_delay_alu instid0(VALU_DEP_2) | instskip(SKIP_2) | instid1(SALU_CYCLE_1)
	v_cmp_ngt_f64_e64 s0, 0, v[2:3]
	scratch_load_b32 v2, v4, off
                                        ; implicit-def: $vgpr3
	s_and_saveexec_b32 s5, s0
	s_xor_b32 s5, exec_lo, s5
	s_cbranch_execz .LBB2_49
; %bb.48:                               ;   in Loop: Header=BB2_47 Depth=1
	scratch_load_b32 v3, off, off offset:96
                                        ; implicit-def: $vgpr4
	s_waitcnt vmcnt(0)
	v_cmp_eq_u32_e64 s0, -1, v3
	v_mov_b32_e32 v3, 0x60
	s_delay_alu instid0(VALU_DEP_2)
	s_and_b32 s2, s0, exec_lo
.LBB2_49:                               ;   in Loop: Header=BB2_47 Depth=1
	s_and_not1_saveexec_b32 s0, s5
	s_cbranch_execz .LBB2_51
; %bb.50:                               ;   in Loop: Header=BB2_47 Depth=1
	scratch_load_b32 v8, off, off offset:100
	v_mov_b32_e32 v3, 0x64
	s_or_b32 s2, s2, exec_lo
	s_waitcnt vmcnt(0)
	scratch_store_b32 v4, v8, off
.LBB2_51:                               ;   in Loop: Header=BB2_47 Depth=1
	s_or_b32 exec_lo, exec_lo, s0
	s_delay_alu instid0(SALU_CYCLE_1)
	s_mov_b32 s0, exec_lo
	s_clause 0x7
	scratch_load_b128 v[14:17], off, off offset:3952
	scratch_load_b128 v[18:21], off, off offset:3968
	scratch_load_b128 v[22:25], off, off offset:3984
	scratch_load_b128 v[26:29], off, off offset:4000
	scratch_load_b128 v[30:33], off, off offset:4016
	scratch_load_b128 v[34:37], off, off offset:4032
	scratch_load_b128 v[38:41], off, off offset:4048
	scratch_load_b128 v[42:45], off, off offset:4064
	s_and_b32 s2, s0, s2
	s_waitcnt vmcnt(4)
	v_mov_b32_e32 v14, v27
	s_mov_b32 exec_lo, s2
	s_cbranch_execz .LBB2_46
; %bb.52:                               ;   in Loop: Header=BB2_47 Depth=1
	scratch_store_b32 v3, v105, off
	s_branch .LBB2_46
.LBB2_53:
	s_or_b32 exec_lo, exec_lo, s4
	s_delay_alu instid0(SALU_CYCLE_1)
	s_and_b32 s2, vcc_lo, exec_lo
.LBB2_54:
	s_or_b32 exec_lo, exec_lo, s3
	s_and_saveexec_b32 s0, s1
; %bb.55:
	v_cmp_gt_f64_e32 vcc_lo, 0, v[145:146]
	v_lshlrev_b32_e32 v2, 2, v142
	v_lshlrev_b32_e32 v1, 2, v5
	;; [unrolled: 1-line block ×3, first 2 shown]
	s_delay_alu instid0(VALU_DEP_3) | instskip(NEXT) | instid1(VALU_DEP_3)
	v_add3_u32 v2, 16, v2, 40
	v_add3_u32 v1, 16, v1, 40
	s_delay_alu instid0(VALU_DEP_3) | instskip(SKIP_1) | instid1(SALU_CYCLE_1)
	v_add3_u32 v0, 16, v0, 40
	s_or_b32 s1, vcc_lo, s2
	v_cndmask_b32_e64 v3, v143, -1, s1
	s_clause 0x2
	scratch_store_b32 v2, v5, off
	scratch_store_b32 v1, v10, off
	;; [unrolled: 1-line block ×3, first 2 shown]
; %bb.56:
	s_or_b32 exec_lo, exec_lo, s0
	s_clause 0x8
	scratch_load_b32 v107, off, off offset:96
	scratch_load_b128 v[15:18], off, off offset:1008
	scratch_load_b128 v[19:22], off, off offset:1024
	scratch_load_b128 v[23:26], off, off offset:1040
	scratch_load_b128 v[27:30], off, off offset:1056
	scratch_load_b128 v[31:34], off, off offset:1072
	scratch_load_b128 v[35:38], off, off offset:1088
	scratch_load_b128 v[39:42], off, off offset:1104
	scratch_load_b128 v[43:46], off, off offset:1120
	v_dual_mov_b32 v78, -1 :: v_dual_mov_b32 v105, 0
	v_dual_mov_b32 v144, -1 :: v_dual_mov_b32 v145, -1
	v_dual_mov_b32 v79, -1 :: v_dual_mov_b32 v106, 0
	s_delay_alu instid0(VALU_DEP_1)
	v_dual_mov_b32 v8, v78 :: v_dual_mov_b32 v9, v79
	s_waitcnt vmcnt(8)
	v_cmp_eq_u32_e32 vcc_lo, 1, v107
	v_cmp_eq_u32_e64 s0, 2, v107
	v_dual_cndmask_b32 v0, v253, v243 :: v_dual_cndmask_b32 v1, v252, v242
	v_cmp_eq_u32_e32 vcc_lo, 3, v107
	s_delay_alu instid0(VALU_DEP_2) | instskip(NEXT) | instid1(VALU_DEP_3)
	v_cndmask_b32_e64 v0, v0, v229, s0
	v_cndmask_b32_e64 v1, v1, v228, s0
	v_cmp_lt_i32_e64 s0, -1, v107
	s_delay_alu instid0(VALU_DEP_2) | instskip(SKIP_1) | instid1(VALU_DEP_2)
	v_dual_cndmask_b32 v0, v0, v117 :: v_dual_cndmask_b32 v1, v1, v116
	v_cmp_eq_u32_e32 vcc_lo, 4, v107
	v_dual_cndmask_b32 v0, v0, v127 :: v_dual_cndmask_b32 v1, v1, v126
	v_cmp_eq_u32_e32 vcc_lo, 5, v107
	s_waitcnt vmcnt(5)
	s_delay_alu instid0(VALU_DEP_2)
	v_cndmask_b32_e32 v0, v0, v26, vcc_lo
	s_clause 0x7
	scratch_load_b128 v[15:18], off, off offset:2032
	scratch_load_b128 v[19:22], off, off offset:2048
	;; [unrolled: 1-line block ×8, first 2 shown]
	s_waitcnt vmcnt(5)
	v_cndmask_b32_e32 v1, v1, v25, vcc_lo
	v_cmp_eq_u32_e32 vcc_lo, 6, v107
	v_cndmask_b32_e32 v0, v0, v14, vcc_lo
	s_clause 0x7
	scratch_load_b128 v[12:15], off, off offset:1904
	scratch_load_b128 v[16:19], off, off offset:1920
	;; [unrolled: 1-line block ×8, first 2 shown]
	s_waitcnt vmcnt(4)
	v_cndmask_b32_e32 v1, v1, v24, vcc_lo
	s_clause 0x7
	scratch_load_b128 v[12:15], off, off offset:1520
	scratch_load_b128 v[16:19], off, off offset:1536
	;; [unrolled: 1-line block ×8, first 2 shown]
	v_cmp_eq_u32_e32 vcc_lo, 7, v107
	s_waitcnt vmcnt(4)
	v_cndmask_b32_e32 v0, v0, v27, vcc_lo
	s_clause 0x7
	scratch_load_b128 v[12:15], off, off offset:1776
	scratch_load_b128 v[16:19], off, off offset:1792
	scratch_load_b128 v[20:23], off, off offset:1808
	scratch_load_b128 v[24:27], off, off offset:1824
	scratch_load_b128 v[28:31], off, off offset:1840
	scratch_load_b128 v[32:35], off, off offset:1856
	scratch_load_b128 v[36:39], off, off offset:1872
	scratch_load_b128 v[40:43], off, off offset:1888
	s_waitcnt vmcnt(4)
	v_cndmask_b32_e32 v1, v1, v26, vcc_lo
	s_clause 0x7
	scratch_load_b128 v[12:15], off, off offset:1392
	scratch_load_b128 v[16:19], off, off offset:1408
	scratch_load_b128 v[20:23], off, off offset:1424
	scratch_load_b128 v[24:27], off, off offset:1440
	scratch_load_b128 v[28:31], off, off offset:1456
	scratch_load_b128 v[32:35], off, off offset:1472
	scratch_load_b128 v[36:39], off, off offset:1488
	scratch_load_b128 v[40:43], off, off offset:1504
	v_cmp_eq_u32_e32 vcc_lo, 8, v107
	s_waitcnt vmcnt(3)
	v_cndmask_b32_e32 v143, v0, v29, vcc_lo
	s_clause 0x7
	scratch_load_b128 v[12:15], off, off offset:1648
	scratch_load_b128 v[16:19], off, off offset:1664
	;; [unrolled: 1-line block ×8, first 2 shown]
	s_waitcnt vmcnt(3)
	v_cndmask_b32_e32 v142, v1, v28, vcc_lo
	s_and_saveexec_b32 s5, s0
	s_cbranch_execz .LBB2_60
; %bb.57:
	s_clause 0x7
	scratch_load_b128 v[14:17], off, off offset:1392
	scratch_load_b128 v[18:21], off, off offset:1408
	;; [unrolled: 1-line block ×8, first 2 shown]
	v_dual_mov_b32 v8, -1 :: v_dual_mov_b32 v9, v142
	v_dual_mov_b32 v144, -1 :: v_dual_mov_b32 v5, v107
	v_dual_mov_b32 v78, -1 :: v_dual_mov_b32 v145, -1
	s_mov_b32 s6, 0
	s_waitcnt vmcnt(3)
	v_mov_b32_e32 v17, v31
	s_clause 0x7
	scratch_load_b128 v[18:21], off, off offset:1520
	scratch_load_b128 v[22:25], off, off offset:1536
	scratch_load_b128 v[26:29], off, off offset:1552
	scratch_load_b128 v[30:33], off, off offset:1568
	scratch_load_b128 v[34:37], off, off offset:1584
	scratch_load_b128 v[38:41], off, off offset:1600
	scratch_load_b128 v[42:45], off, off offset:1616
	scratch_load_b128 v[46:49], off, off offset:1632
	s_waitcnt vmcnt(4)
	v_mov_b32_e32 v16, v33
	s_clause 0x7
	scratch_load_b128 v[18:21], off, off offset:3952
	scratch_load_b128 v[22:25], off, off offset:3968
	scratch_load_b128 v[26:29], off, off offset:3984
	scratch_load_b128 v[30:33], off, off offset:4000
	scratch_load_b128 v[34:37], off, off offset:4016
	scratch_load_b128 v[38:41], off, off offset:4032
	scratch_load_b128 v[42:45], off, off offset:4048
	scratch_load_b128 v[46:49], off, off offset:4064
	;; [unrolled: 11-line block ×3, first 2 shown]
	s_waitcnt vmcnt(5)
	v_dual_mov_b32 v10, v143 :: v_dual_mov_b32 v21, v32
	s_clause 0x7
	scratch_load_b128 v[22:25], off, off offset:1648
	scratch_load_b128 v[26:29], off, off offset:1664
	scratch_load_b128 v[30:33], off, off offset:1680
	scratch_load_b128 v[34:37], off, off offset:1696
	scratch_load_b128 v[38:41], off, off offset:1712
	scratch_load_b128 v[42:45], off, off offset:1728
	scratch_load_b128 v[46:49], off, off offset:1744
	scratch_load_b128 v[50:53], off, off offset:1760
	s_waitcnt vmcnt(3)
	v_mov_b32_e32 v22, v38
	s_clause 0x7
	scratch_load_b128 v[23:26], off, off offset:1776
	scratch_load_b128 v[27:30], off, off offset:1792
	scratch_load_b128 v[31:34], off, off offset:1808
	scratch_load_b128 v[35:38], off, off offset:1824
	scratch_load_b128 v[39:42], off, off offset:1840
	scratch_load_b128 v[43:46], off, off offset:1856
	scratch_load_b128 v[47:50], off, off offset:1872
	scratch_load_b128 v[51:54], off, off offset:1888
	s_waitcnt vmcnt(4)
	v_mov_b32_e32 v23, v37
	;; [unrolled: 11-line block ×4, first 2 shown]
.LBB2_58:                               ; =>This Inner Loop Header: Depth=1
	s_delay_alu instid0(VALU_DEP_1)
	v_lshl_add_u32 v0, v5, 2, v76
	v_dual_mov_b32 v106, v10 :: v_dual_mov_b32 v105, v9
	v_add_nc_u32_e64 v76, 16, 40
	scratch_load_b32 v18, v0, off
	v_cmp_gt_f64_e64 s3, 0, v[105:106]
	s_waitcnt vmcnt(0)
	v_cmp_gt_i32_e32 vcc_lo, 0, v18
	v_cndmask_b32_e32 v19, v18, v107, vcc_lo
	s_delay_alu instid0(VALU_DEP_1) | instskip(SKIP_1) | instid1(VALU_DEP_2)
	v_cmp_eq_u32_e64 s1, 1, v19
	v_cmp_eq_u32_e64 s2, 2, v19
	v_cndmask_b32_e64 v0, v253, v243, s1
	v_cndmask_b32_e64 v1, v252, v242, s1
	v_cmp_eq_u32_e64 s1, 3, v19
	s_delay_alu instid0(VALU_DEP_3) | instskip(NEXT) | instid1(VALU_DEP_3)
	v_cndmask_b32_e64 v0, v0, v229, s2
	v_cndmask_b32_e64 v1, v1, v228, s2
	s_delay_alu instid0(VALU_DEP_2) | instskip(NEXT) | instid1(VALU_DEP_2)
	v_cndmask_b32_e64 v0, v0, v117, s1
	v_cndmask_b32_e64 v1, v1, v116, s1
	v_cmp_eq_u32_e64 s1, 4, v19
	s_delay_alu instid0(VALU_DEP_1) | instskip(NEXT) | instid1(VALU_DEP_3)
	v_cndmask_b32_e64 v0, v0, v127, s1
	v_cndmask_b32_e64 v1, v1, v126, s1
	v_cmp_eq_u32_e64 s1, 5, v19
	s_delay_alu instid0(VALU_DEP_1) | instskip(NEXT) | instid1(VALU_DEP_3)
	;; [unrolled: 4-line block ×5, first 2 shown]
	v_cndmask_b32_e64 v15, v0, v17, s1
	v_cndmask_b32_e64 v14, v1, v22, s1
	v_cmp_le_f64_e64 s1, 0, v[105:106]
	s_delay_alu instid0(VALU_DEP_2) | instskip(SKIP_2) | instid1(VALU_DEP_3)
	v_cmp_gt_f64_e64 s2, 0, v[14:15]
	v_cmp_le_f64_e64 s4, 0, v[14:15]
	v_dual_mov_b32 v9, v14 :: v_dual_mov_b32 v10, v15
	s_and_b32 s1, s1, s2
	s_delay_alu instid0(VALU_DEP_2)
	s_and_b32 s2, s3, s4
	v_cndmask_b32_e64 v8, v8, v19, s1
	v_cndmask_b32_e64 v145, v145, v19, s2
	;; [unrolled: 1-line block ×4, first 2 shown]
	v_mov_b32_e32 v5, v18
	s_or_b32 s6, vcc_lo, s6
	s_delay_alu instid0(SALU_CYCLE_1)
	s_and_not1_b32 exec_lo, exec_lo, s6
	s_cbranch_execnz .LBB2_58
; %bb.59:
	s_or_b32 exec_lo, exec_lo, s6
.LBB2_60:
	s_delay_alu instid0(SALU_CYCLE_1)
	s_or_b32 exec_lo, exec_lo, s5
	v_cmp_lt_i32_e64 s1, -1, v144
	v_dual_mov_b32 v146, -1 :: v_dual_mov_b32 v5, -1
	v_mov_b32_e32 v10, -1
	s_mov_b32 s26, exec_lo
	s_clause 0x7
	scratch_load_b128 v[14:17], off, off offset:3952
	scratch_load_b128 v[18:21], off, off offset:3968
	;; [unrolled: 1-line block ×8, first 2 shown]
	s_and_b32 s2, s26, s1
	s_waitcnt vmcnt(4)
	v_mov_b32_e32 v74, v27
	s_mov_b32 exec_lo, s2
	s_cbranch_execz .LBB2_62
; %bb.61:
	s_clause 0xf
	scratch_load_b128 v[14:17], off, off offset:1008
	scratch_load_b128 v[18:21], off, off offset:1024
	;; [unrolled: 1-line block ×16, first 2 shown]
	v_cmp_eq_u32_e64 s2, 1, v8
	v_cmp_eq_u32_e64 s3, 2, v8
	;; [unrolled: 1-line block ×5, first 2 shown]
	v_cndmask_b32_e64 v5, v253, v243, s2
	v_cmp_eq_u32_e64 s7, 6, v8
	v_cmp_eq_u32_e64 s8, 7, v8
	v_cmp_eq_u32_e64 s9, 8, v8
	v_cndmask_b32_e64 v8, v252, v242, s2
	v_cndmask_b32_e64 v5, v5, v229, s3
	v_cmp_eq_u32_e64 s10, 1, v144
	v_cmp_eq_u32_e64 s11, 2, v144
	v_cmp_eq_u32_e64 s12, 3, v144
	v_cndmask_b32_e64 v8, v8, v228, s3
	;; [unrolled: 5-line block ×3, first 2 shown]
	v_cndmask_b32_e64 v5, v5, v127, s5
	v_cmp_eq_u32_e64 s16, 7, v144
	v_cmp_eq_u32_e64 s19, 8, v144
	s_delay_alu instid0(VALU_DEP_4)
	v_cndmask_b32_e64 v8, v8, v126, s5
	s_waitcnt vmcnt(13)
	v_mov_b32_e32 v75, v25
	s_clause 0x7
	scratch_load_b128 v[14:17], off, off offset:2032
	scratch_load_b128 v[18:21], off, off offset:2048
	;; [unrolled: 1-line block ×8, first 2 shown]
	s_waitcnt vmcnt(5)
	v_mov_b32_e32 v60, v24
	s_clause 0x7
	scratch_load_b128 v[14:17], off, off offset:1904
	scratch_load_b128 v[18:21], off, off offset:1920
	;; [unrolled: 1-line block ×8, first 2 shown]
	v_cndmask_b32_e64 v5, v5, v75, s6
	v_cndmask_b32_e64 v8, v8, v60, s6
	s_delay_alu instid0(VALU_DEP_2) | instskip(NEXT) | instid1(VALU_DEP_1)
	v_cndmask_b32_e64 v5, v5, v74, s7
	v_cndmask_b32_e64 v5, v5, v56, s8
	s_waitcnt vmcnt(4)
	v_mov_b32_e32 v59, v26
	s_clause 0x7
	scratch_load_b128 v[14:17], off, off offset:1776
	scratch_load_b128 v[18:21], off, off offset:1792
	;; [unrolled: 1-line block ×8, first 2 shown]
	s_waitcnt vmcnt(4)
	v_mov_b32_e32 v58, v28
	s_clause 0x7
	scratch_load_b128 v[22:25], off, off offset:1392
	scratch_load_b128 v[26:29], off, off offset:1408
	;; [unrolled: 1-line block ×8, first 2 shown]
	v_cndmask_b32_e64 v8, v8, v59, s7
	s_delay_alu instid0(VALU_DEP_1)
	v_cndmask_b32_e64 v8, v8, v58, s8
	s_waitcnt vmcnt(3)
	v_mov_b32_e32 v57, v39
	s_clause 0x7
	scratch_load_b128 v[24:27], off, off offset:1648
	scratch_load_b128 v[28:31], off, off offset:1664
	;; [unrolled: 1-line block ×8, first 2 shown]
	v_cndmask_b32_e64 v62, v5, v57, s9
	v_cndmask_b32_e64 v5, v253, v243, s10
	s_delay_alu instid0(VALU_DEP_1) | instskip(NEXT) | instid1(VALU_DEP_1)
	v_cndmask_b32_e64 v5, v5, v229, s11
	v_cndmask_b32_e64 v5, v5, v117, s12
	s_delay_alu instid0(VALU_DEP_1) | instskip(NEXT) | instid1(VALU_DEP_1)
	;; [unrolled: 3-line block ×3, first 2 shown]
	v_cndmask_b32_e64 v5, v5, v74, s15
	v_cndmask_b32_e64 v5, v5, v56, s16
	s_delay_alu instid0(VALU_DEP_1) | instskip(SKIP_1) | instid1(VALU_DEP_1)
	v_cndmask_b32_e64 v64, v5, v57, s19
	v_cndmask_b32_e64 v5, v249, v247, s10
	;; [unrolled: 1-line block ×3, first 2 shown]
	s_delay_alu instid0(VALU_DEP_1) | instskip(NEXT) | instid1(VALU_DEP_1)
	v_cndmask_b32_e64 v5, v5, v111, s12
	v_cndmask_b32_e64 v5, v5, v83, s13
	s_waitcnt vmcnt(0)
	v_mov_b32_e32 v53, v40
	s_delay_alu instid0(VALU_DEP_1) | instskip(SKIP_1) | instid1(VALU_DEP_2)
	v_cndmask_b32_e64 v61, v8, v53, s9
	v_cndmask_b32_e64 v8, v252, v242, s10
	v_add_f64 v[14:15], -v[61:62], 0
	s_delay_alu instid0(VALU_DEP_2) | instskip(NEXT) | instid1(VALU_DEP_1)
	v_cndmask_b32_e64 v8, v8, v228, s11
	v_cndmask_b32_e64 v8, v8, v116, s12
	s_delay_alu instid0(VALU_DEP_1) | instskip(NEXT) | instid1(VALU_DEP_1)
	v_cndmask_b32_e64 v8, v8, v126, s13
	v_cndmask_b32_e64 v8, v8, v60, s14
	s_delay_alu instid0(VALU_DEP_1) | instskip(NEXT) | instid1(VALU_DEP_1)
	v_cndmask_b32_e64 v8, v8, v59, s15
	v_cndmask_b32_e64 v8, v8, v58, s16
	s_delay_alu instid0(VALU_DEP_1) | instskip(SKIP_1) | instid1(VALU_DEP_2)
	v_cndmask_b32_e64 v63, v8, v53, s19
	v_cndmask_b32_e64 v8, v248, v246, s10
	v_add_f64 v[18:19], v[63:64], -v[61:62]
	s_delay_alu instid0(VALU_DEP_2) | instskip(NEXT) | instid1(VALU_DEP_1)
	v_cndmask_b32_e64 v8, v8, v108, s11
	v_cndmask_b32_e64 v8, v8, v110, s12
	s_delay_alu instid0(VALU_DEP_1) | instskip(NEXT) | instid1(VALU_DEP_4)
	v_cndmask_b32_e64 v8, v8, v82, s13
	v_div_scale_f64 v[20:21], null, v[18:19], v[18:19], v[14:15]
	s_delay_alu instid0(VALU_DEP_1) | instskip(SKIP_2) | instid1(VALU_DEP_1)
	v_rcp_f64_e32 v[22:23], v[20:21]
	s_waitcnt_depctr 0xfff
	v_fma_f64 v[24:25], -v[20:21], v[22:23], 1.0
	v_fma_f64 v[22:23], v[22:23], v[24:25], v[22:23]
	s_delay_alu instid0(VALU_DEP_1) | instskip(NEXT) | instid1(VALU_DEP_1)
	v_fma_f64 v[24:25], -v[20:21], v[22:23], 1.0
	v_fma_f64 v[22:23], v[22:23], v[24:25], v[22:23]
	v_div_scale_f64 v[24:25], vcc_lo, v[14:15], v[18:19], v[14:15]
	s_delay_alu instid0(VALU_DEP_1) | instskip(NEXT) | instid1(VALU_DEP_1)
	v_mul_f64 v[26:27], v[24:25], v[22:23]
	v_fma_f64 v[20:21], -v[20:21], v[26:27], v[24:25]
	s_delay_alu instid0(VALU_DEP_1) | instskip(NEXT) | instid1(VALU_DEP_1)
	v_div_fmas_f64 v[20:21], v[20:21], v[22:23], v[26:27]
	v_div_fixup_f64 v[76:77], v[20:21], v[18:19], v[14:15]
	s_clause 0x7
	scratch_load_b128 v[9:12], off, off offset:2416
	scratch_load_b128 v[13:16], off, off offset:2432
	;; [unrolled: 1-line block ×8, first 2 shown]
	s_waitcnt vmcnt(5)
	v_mov_b32_e32 v66, v20
	s_clause 0x7
	scratch_load_b128 v[9:12], off, off offset:2544
	scratch_load_b128 v[13:16], off, off offset:2560
	scratch_load_b128 v[17:20], off, off offset:2576
	scratch_load_b128 v[21:24], off, off offset:2592
	scratch_load_b128 v[25:28], off, off offset:2608
	scratch_load_b128 v[29:32], off, off offset:2624
	scratch_load_b128 v[33:36], off, off offset:2640
	scratch_load_b128 v[37:40], off, off offset:2656
	v_cndmask_b32_e64 v5, v5, v66, s14
	s_waitcnt vmcnt(5)
	v_mov_b32_e32 v67, v19
	s_clause 0x7
	scratch_load_b128 v[9:12], off, off offset:2288
	scratch_load_b128 v[13:16], off, off offset:2304
	scratch_load_b128 v[17:20], off, off offset:2320
	scratch_load_b128 v[21:24], off, off offset:2336
	scratch_load_b128 v[25:28], off, off offset:2352
	scratch_load_b128 v[29:32], off, off offset:2368
	scratch_load_b128 v[33:36], off, off offset:2384
	scratch_load_b128 v[37:40], off, off offset:2400
	v_cndmask_b32_e64 v8, v8, v67, s14
	;; [unrolled: 12-line block ×4, first 2 shown]
	s_waitcnt vmcnt(4)
	v_mov_b32_e32 v71, v34
	s_clause 0x7
	scratch_load_b128 v[21:24], off, off offset:2800
	scratch_load_b128 v[25:28], off, off offset:2816
	;; [unrolled: 1-line block ×8, first 2 shown]
	s_waitcnt vmcnt(0)
	v_cndmask_b32_e64 v49, v236, v234, s2
	v_cndmask_b32_e64 v54, v5, v71, s16
	s_delay_alu instid0(VALU_DEP_2) | instskip(NEXT) | instid1(VALU_DEP_1)
	v_cndmask_b32_e64 v49, v49, v254, s3
	v_cndmask_b32_e64 v49, v49, v182, s4
	s_delay_alu instid0(VALU_DEP_1) | instskip(NEXT) | instid1(VALU_DEP_1)
	v_cndmask_b32_e64 v49, v49, v192, s5
	v_cndmask_b32_e64 v49, v49, v154, s6
	;; [unrolled: 1-line block ×3, first 2 shown]
	s_clause 0x7
	scratch_load_b128 v[0:3], off, off offset:3696
	scratch_load_b128 v[4:7], off, off offset:3712
	scratch_load_b128 v[8:11], off, off offset:3728
	scratch_load_b128 v[12:15], off, off offset:3744
	scratch_load_b128 v[16:19], off, off offset:3760
	scratch_load_b128 v[20:23], off, off offset:3776
	scratch_load_b128 v[24:27], off, off offset:3792
	scratch_load_b128 v[28:31], off, off offset:3808
	s_waitcnt vmcnt(3)
	v_mov_b32_e32 v32, v17
	s_clause 0x7
	scratch_load_b128 v[0:3], off, off offset:3824
	scratch_load_b128 v[4:7], off, off offset:3840
	;; [unrolled: 1-line block ×8, first 2 shown]
	s_waitcnt vmcnt(6)
	v_cndmask_b32_e64 v5, v249, v247, s2
	s_waitcnt vmcnt(5)
	v_cndmask_b32_e64 v8, v248, v246, s2
	v_cndmask_b32_e64 v10, v245, v241, s2
	;; [unrolled: 1-line block ×3, first 2 shown]
	v_add_f64 v[54:55], -v[76:77], 1.0
	v_cndmask_b32_e64 v5, v5, v109, s3
	v_cndmask_b32_e64 v8, v8, v108, s3
	s_waitcnt vmcnt(1)
	v_cndmask_b32_e64 v27, v244, v240, s2
	v_cndmask_b32_e64 v10, v10, v251, s3
	s_waitcnt vmcnt(0)
	v_cndmask_b32_e64 v29, v244, v240, s10
	v_cndmask_b32_e64 v5, v5, v111, s4
	;; [unrolled: 1-line block ×4, first 2 shown]
	s_delay_alu instid0(VALU_DEP_4) | instskip(NEXT) | instid1(VALU_DEP_4)
	v_cndmask_b32_e64 v29, v29, v250, s11
	v_cndmask_b32_e64 v5, v5, v83, s5
	s_delay_alu instid0(VALU_DEP_4) | instskip(NEXT) | instid1(VALU_DEP_2)
	v_cndmask_b32_e64 v8, v8, v82, s5
	v_cndmask_b32_e64 v5, v5, v66, s6
	s_delay_alu instid0(VALU_DEP_2) | instskip(NEXT) | instid1(VALU_DEP_2)
	v_cndmask_b32_e64 v8, v8, v67, s6
	v_cndmask_b32_e64 v5, v5, v65, s7
	s_delay_alu instid0(VALU_DEP_2) | instskip(NEXT) | instid1(VALU_DEP_2)
	;; [unrolled: 3-line block ×3, first 2 shown]
	v_cndmask_b32_e64 v8, v8, v35, s8
	v_cndmask_b32_e64 v19, v5, v32, s9
	scratch_load_b32 v5, off, off offset:100
	v_cndmask_b32_e64 v18, v8, v16, s9
	v_cndmask_b32_e64 v33, v33, v16, s19
	s_delay_alu instid0(VALU_DEP_2)
	v_mul_f64 v[18:19], v[18:19], v[54:55]
	s_waitcnt vmcnt(0)
	v_cmp_eq_u32_e32 vcc_lo, 8, v5
	v_cmp_eq_u32_e64 s20, 7, v5
	v_cmp_eq_u32_e64 s21, 6, v5
	;; [unrolled: 1-line block ×5, first 2 shown]
	v_fma_f64 v[68:69], v[33:34], v[76:77], v[18:19]
	s_delay_alu instid0(VALU_DEP_1) | instskip(NEXT) | instid1(VALU_DEP_2)
	v_cndmask_b32_e32 v22, v32, v69, vcc_lo
	v_cndmask_b32_e32 v8, v16, v68, vcc_lo
	v_dual_mov_b32 v16, v202 :: v_dual_mov_b32 v17, v203
	s_clause 0x7
	scratch_load_b128 v[194:197], off, off offset:880
	scratch_load_b128 v[198:201], off, off offset:896
	;; [unrolled: 1-line block ×8, first 2 shown]
	v_cndmask_b32_e64 v14, v35, v68, s20
	v_cndmask_b32_e64 v15, v70, v68, s21
	;; [unrolled: 1-line block ×10, first 2 shown]
	s_waitcnt vmcnt(6)
	v_dual_mov_b32 v42, v200 :: v_dual_mov_b32 v43, v201
	s_clause 0x7
	scratch_load_b128 v[194:197], off, off offset:1264
	scratch_load_b128 v[198:201], off, off offset:1280
	;; [unrolled: 1-line block ×8, first 2 shown]
	v_cndmask_b32_e64 v27, v27, v42, s4
	v_cndmask_b32_e64 v10, v10, v43, s4
	v_cndmask_b32_e64 v29, v29, v42, s12
	s_delay_alu instid0(VALU_DEP_3) | instskip(NEXT) | instid1(VALU_DEP_3)
	v_cndmask_b32_e64 v27, v27, v16, s5
	v_cndmask_b32_e64 v10, v10, v17, s5
	s_delay_alu instid0(VALU_DEP_3)
	v_cndmask_b32_e64 v29, v29, v16, s13
	s_waitcnt vmcnt(5)
	v_mov_b32_e32 v36, v205
	s_clause 0x7
	scratch_load_b128 v[194:197], off, off offset:3568
	scratch_load_b128 v[198:201], off, off offset:3584
	;; [unrolled: 1-line block ×8, first 2 shown]
	s_waitcnt vmcnt(5)
	v_mov_b32_e32 v41, v204
	s_clause 0x7
	scratch_load_b128 v[194:197], off, off offset:1136
	scratch_load_b128 v[198:201], off, off offset:1152
	scratch_load_b128 v[202:205], off, off offset:1168
	scratch_load_b128 v[206:209], off, off offset:1184
	scratch_load_b128 v[210:213], off, off offset:1200
	scratch_load_b128 v[214:217], off, off offset:1216
	scratch_load_b128 v[218:221], off, off offset:1232
	scratch_load_b128 v[222:225], off, off offset:1248
	v_cndmask_b32_e64 v10, v10, v36, s6
	v_cndmask_b32_e64 v27, v27, v41, s6
	;; [unrolled: 1-line block ×3, first 2 shown]
	s_waitcnt vmcnt(4)
	v_mov_b32_e32 v35, v207
	s_clause 0x7
	scratch_load_b128 v[194:197], off, off offset:3440
	scratch_load_b128 v[198:201], off, off offset:3456
	scratch_load_b128 v[202:205], off, off offset:3472
	scratch_load_b128 v[206:209], off, off offset:3488
	scratch_load_b128 v[210:213], off, off offset:3504
	scratch_load_b128 v[214:217], off, off offset:3520
	scratch_load_b128 v[218:221], off, off offset:3536
	scratch_load_b128 v[222:225], off, off offset:3552
	s_waitcnt vmcnt(4)
	v_mov_b32_e32 v39, v206
	s_clause 0x7
	scratch_load_b128 v[194:197], off, off offset:3056
	scratch_load_b128 v[198:201], off, off offset:3072
	scratch_load_b128 v[202:205], off, off offset:3088
	scratch_load_b128 v[206:209], off, off offset:3104
	scratch_load_b128 v[210:213], off, off offset:3120
	scratch_load_b128 v[214:217], off, off offset:3136
	scratch_load_b128 v[218:221], off, off offset:3152
	scratch_load_b128 v[222:225], off, off offset:3168
	;; [unrolled: 11-line block ×3, first 2 shown]
	v_cndmask_b32_e64 v10, v10, v35, s7
	s_delay_alu instid0(VALU_DEP_1)
	v_cndmask_b32_e64 v10, v10, v32, s8
	s_waitcnt vmcnt(4)
	v_mov_b32_e32 v34, v208
	s_clause 0x7
	scratch_load_b128 v[194:197], off, off offset:2928
	scratch_load_b128 v[198:201], off, off offset:2944
	;; [unrolled: 1-line block ×8, first 2 shown]
	v_cndmask_b32_e64 v27, v27, v39, s7
	v_cndmask_b32_e64 v29, v29, v39, s15
	s_delay_alu instid0(VALU_DEP_2) | instskip(NEXT) | instid1(VALU_DEP_2)
	v_cndmask_b32_e64 v27, v27, v34, s8
	v_cndmask_b32_e64 v29, v29, v34, s16
	s_waitcnt vmcnt(3)
	v_mov_b32_e32 v31, v211
	s_clause 0x7
	scratch_load_b128 v[194:197], off, off offset:3184
	scratch_load_b128 v[198:201], off, off offset:3200
	;; [unrolled: 1-line block ×8, first 2 shown]
	v_cndmask_b32_e64 v28, v10, v31, s9
	v_cndmask_b32_e64 v10, v245, v241, s10
	s_delay_alu instid0(VALU_DEP_1) | instskip(NEXT) | instid1(VALU_DEP_1)
	v_cndmask_b32_e64 v10, v10, v251, s11
	v_cndmask_b32_e64 v10, v10, v43, s12
	s_delay_alu instid0(VALU_DEP_1) | instskip(NEXT) | instid1(VALU_DEP_1)
	;; [unrolled: 3-line block ×3, first 2 shown]
	v_cndmask_b32_e64 v10, v10, v35, s15
	v_cndmask_b32_e64 v10, v10, v32, s16
	s_delay_alu instid0(VALU_DEP_1) | instskip(SKIP_2) | instid1(VALU_DEP_2)
	v_cndmask_b32_e64 v30, v10, v31, s19
	v_cndmask_b32_e64 v10, v237, v235, s2
	v_cmp_eq_u32_e64 s2, 4, v145
	v_cndmask_b32_e64 v10, v10, v255, s3
	v_cmp_eq_u32_e64 s3, 6, v145
	s_delay_alu instid0(VALU_DEP_2) | instskip(SKIP_1) | instid1(VALU_DEP_2)
	v_cndmask_b32_e64 v10, v10, v183, s4
	v_cmp_eq_u32_e64 s4, 5, v145
	v_cndmask_b32_e64 v10, v10, v193, s5
	v_cmp_eq_u32_e64 s5, 3, v145
	s_waitcnt vmcnt(3)
	v_mov_b32_e32 v33, v210
	s_delay_alu instid0(VALU_DEP_1) | instskip(SKIP_1) | instid1(VALU_DEP_2)
	v_cndmask_b32_e64 v27, v27, v33, s9
	v_cndmask_b32_e64 v29, v29, v33, s19
	v_mul_f64 v[27:28], v[27:28], v[54:55]
	s_delay_alu instid0(VALU_DEP_1) | instskip(NEXT) | instid1(VALU_DEP_1)
	v_fma_f64 v[70:71], v[29:30], v[76:77], v[27:28]
	v_cndmask_b32_e32 v30, v33, v70, vcc_lo
	v_cndmask_b32_e64 v29, v34, v70, s20
	s_delay_alu instid0(VALU_DEP_3)
	v_cndmask_b32_e32 v34, v31, v71, vcc_lo
	v_cndmask_b32_e64 v33, v32, v71, s20
	v_cndmask_b32_e64 v32, v35, v71, s21
	;; [unrolled: 1-line block ×3, first 2 shown]
	v_mul_f64 v[35:36], v[61:62], v[54:55]
	v_cndmask_b32_e64 v45, v16, v70, s18
	v_cndmask_b32_e64 v47, v17, v71, s18
	;; [unrolled: 1-line block ×6, first 2 shown]
	v_fma_f64 v[72:73], v[63:64], v[76:77], v[35:36]
	s_delay_alu instid0(VALU_DEP_1) | instskip(NEXT) | instid1(VALU_DEP_2)
	v_cndmask_b32_e64 v16, v126, v72, s18
	v_cndmask_b32_e64 v17, v127, v73, s18
	;; [unrolled: 1-line block ×4, first 2 shown]
	s_clause 0x7
	scratch_load_b128 v[110:113], off, off offset:368
	scratch_load_b128 v[114:117], off, off offset:384
	;; [unrolled: 1-line block ×8, first 2 shown]
	v_cndmask_b32_e64 v36, v59, v72, s21
	v_cndmask_b32_e64 v37, v58, v72, s20
	;; [unrolled: 1-line block ×6, first 2 shown]
	s_waitcnt vmcnt(5)
	v_mov_b32_e32 v50, v121
	s_clause 0x7
	scratch_load_b128 v[110:113], off, off offset:240
	scratch_load_b128 v[114:117], off, off offset:256
	;; [unrolled: 1-line block ×8, first 2 shown]
	s_waitcnt vmcnt(4)
	v_dual_cndmask_b32 v38, v53, v72 :: v_dual_mov_b32 v41, v123
	s_clause 0x7
	scratch_load_b128 v[110:113], off, off offset:752
	scratch_load_b128 v[114:117], off, off offset:768
	;; [unrolled: 1-line block ×8, first 2 shown]
	s_waitcnt vmcnt(4)
	v_dual_cndmask_b32 v44, v57, v73 :: v_dual_mov_b32 v59, v122
	s_clause 0x7
	scratch_load_b128 v[110:113], off, off offset:112
	scratch_load_b128 v[114:117], off, off offset:128
	;; [unrolled: 1-line block ×8, first 2 shown]
	v_cndmask_b32_e64 v49, v49, v59, s7
	s_waitcnt vmcnt(4)
	v_mov_b32_e32 v40, v125
	s_clause 0x7
	scratch_load_b128 v[110:113], off, off offset:624
	scratch_load_b128 v[114:117], off, off offset:640
	;; [unrolled: 1-line block ×8, first 2 shown]
	s_waitcnt vmcnt(4)
	v_mov_b32_e32 v58, v124
	s_clause 0x7
	scratch_load_b128 v[110:113], off, off offset:496
	scratch_load_b128 v[114:117], off, off offset:512
	;; [unrolled: 1-line block ×8, first 2 shown]
	v_cndmask_b32_e64 v49, v49, v58, s8
	s_waitcnt vmcnt(3)
	v_mov_b32_e32 v51, v126
	v_cndmask_b32_e64 v10, v10, v50, s6
	v_cmp_eq_u32_e64 s6, 8, v145
	s_delay_alu instid0(VALU_DEP_3) | instskip(NEXT) | instid1(VALU_DEP_3)
	v_cndmask_b32_e64 v56, v49, v51, s9
	v_cndmask_b32_e64 v10, v10, v41, s7
	;; [unrolled: 1-line block ×3, first 2 shown]
	v_cmp_eq_u32_e64 s7, 7, v145
	s_delay_alu instid0(VALU_DEP_3) | instskip(NEXT) | instid1(VALU_DEP_3)
	v_cndmask_b32_e64 v10, v10, v40, s8
	v_cndmask_b32_e64 v49, v49, v254, s11
	v_cmp_eq_u32_e64 s8, 3, v78
	s_delay_alu instid0(VALU_DEP_3) | instskip(SKIP_1) | instid1(VALU_DEP_4)
	v_cndmask_b32_e64 v57, v10, v101, s9
	v_cndmask_b32_e64 v10, v237, v235, s10
	;; [unrolled: 1-line block ×3, first 2 shown]
	v_cmp_eq_u32_e64 s9, 5, v78
	v_cmp_eq_u32_e64 s10, 8, v78
	v_mul_f64 v[54:55], v[56:57], v[54:55]
	v_cndmask_b32_e64 v10, v10, v255, s11
	v_cndmask_b32_e64 v49, v49, v192, s13
	v_cmp_eq_u32_e64 s11, 2, v145
	s_delay_alu instid0(VALU_DEP_3) | instskip(NEXT) | instid1(VALU_DEP_3)
	v_cndmask_b32_e64 v10, v10, v183, s12
	v_cndmask_b32_e64 v49, v49, v154, s14
	v_cmp_eq_u32_e64 s12, 4, v78
	s_delay_alu instid0(VALU_DEP_3) | instskip(NEXT) | instid1(VALU_DEP_3)
	;; [unrolled: 4-line block ×4, first 2 shown]
	v_cndmask_b32_e64 v10, v10, v41, s15
	v_cndmask_b32_e64 v56, v49, v51, s19
	v_cmp_eq_u32_e64 s15, 1, v78
	s_delay_alu instid0(VALU_DEP_3) | instskip(SKIP_1) | instid1(VALU_DEP_2)
	v_cndmask_b32_e64 v10, v10, v40, s16
	v_cmp_eq_u32_e64 s16, 2, v78
	v_cndmask_b32_e64 v57, v10, v101, s19
	v_cmp_eq_u32_e64 s19, 1, v145
	s_delay_alu instid0(VALU_DEP_2) | instskip(NEXT) | instid1(VALU_DEP_1)
	v_fma_f64 v[74:75], v[56:57], v[76:77], v[54:55]
	v_cndmask_b32_e64 v53, v58, v74, s20
	v_cndmask_b32_e64 v52, v59, v74, s21
	s_delay_alu instid0(VALU_DEP_3)
	v_cndmask_b32_e64 v57, v40, v75, s20
	v_cndmask_b32_e64 v56, v41, v75, s21
	v_cmp_eq_u32_e64 s20, 1, v5
	v_cmp_eq_u32_e64 s21, 0, v5
	v_cndmask_b32_e64 v49, v154, v74, s22
	v_cndmask_b32_e64 v55, v50, v75, s22
	v_cmp_eq_u32_e64 s22, 2, v5
	v_cndmask_b32_e64 v59, v242, v72, s20
	v_cndmask_b32_e64 v62, v243, v73, s20
	;; [unrolled: 1-line block ×13, first 2 shown]
	v_cndmask_b32_e32 v58, v101, v75, vcc_lo
	v_cndmask_b32_e64 v68, v68, v65, s16
	v_cndmask_b32_e64 v72, v72, v63, s16
	;; [unrolled: 1-line block ×9, first 2 shown]
	v_cndmask_b32_e32 v54, v51, v74, vcc_lo
	v_cndmask_b32_e64 v68, v68, v17, s12
	v_cndmask_b32_e64 v72, v72, v16, s12
	;; [unrolled: 1-line block ×26, first 2 shown]
	v_add_f64 v[78:79], -v[72:73], 0
	v_cndmask_b32_e64 v95, v234, v74, s20
	v_add_f64 v[80:81], v[76:77], -v[72:73]
	v_cndmask_b32_e64 v96, v236, v74, s21
	v_cndmask_b32_e64 v71, v92, v91, s15
	;; [unrolled: 1-line block ×10, first 2 shown]
	s_delay_alu instid0(VALU_DEP_4) | instskip(NEXT) | instid1(VALU_DEP_4)
	v_cndmask_b32_e64 v71, v71, v48, s8
	v_cndmask_b32_e64 v68, v68, v23, s12
	s_delay_alu instid0(VALU_DEP_4) | instskip(NEXT) | instid1(VALU_DEP_4)
	v_cndmask_b32_e64 v51, v51, v67, s11
	v_cndmask_b32_e64 v101, v101, v94, s16
	;; [unrolled: 3-line block ×3, first 2 shown]
	s_delay_alu instid0(VALU_DEP_1) | instskip(NEXT) | instid1(VALU_DEP_1)
	v_cndmask_b32_e64 v68, v68, v15, s14
	v_cndmask_b32_e64 v68, v68, v14, s13
	v_div_scale_f64 v[82:83], null, v[80:81], v[80:81], v[78:79]
	v_div_scale_f64 v[88:89], vcc_lo, v[78:79], v[80:81], v[78:79]
	s_delay_alu instid0(VALU_DEP_2) | instskip(SKIP_2) | instid1(VALU_DEP_1)
	v_rcp_f64_e32 v[84:85], v[82:83]
	s_waitcnt_depctr 0xfff
	v_fma_f64 v[86:87], -v[82:83], v[84:85], 1.0
	v_fma_f64 v[84:85], v[84:85], v[86:87], v[84:85]
	s_delay_alu instid0(VALU_DEP_1) | instskip(NEXT) | instid1(VALU_DEP_1)
	v_fma_f64 v[86:87], -v[82:83], v[84:85], 1.0
	v_fma_f64 v[84:85], v[84:85], v[86:87], v[84:85]
	s_delay_alu instid0(VALU_DEP_1) | instskip(NEXT) | instid1(VALU_DEP_1)
	v_mul_f64 v[86:87], v[88:89], v[84:85]
	v_fma_f64 v[82:83], -v[82:83], v[86:87], v[88:89]
	v_cndmask_b32_e64 v88, v240, v70, s20
	v_cndmask_b32_e64 v89, v244, v70, s21
	s_delay_alu instid0(VALU_DEP_3)
	v_div_fmas_f64 v[82:83], v[82:83], v[84:85], v[86:87]
	v_cndmask_b32_e64 v85, v247, v69, s20
	v_cndmask_b32_e64 v86, v249, v69, s21
	;; [unrolled: 1-line block ×8, first 2 shown]
	s_delay_alu instid0(VALU_DEP_4) | instskip(NEXT) | instid1(VALU_DEP_4)
	v_cndmask_b32_e64 v70, v70, v87, s11
	v_cndmask_b32_e64 v69, v69, v90, s11
	s_delay_alu instid0(VALU_DEP_4) | instskip(NEXT) | instid1(VALU_DEP_4)
	v_cndmask_b32_e64 v102, v40, v84, s16
	v_cndmask_b32_e64 v50, v50, v84, s11
	s_delay_alu instid0(VALU_DEP_4) | instskip(NEXT) | instid1(VALU_DEP_3)
	v_cndmask_b32_e64 v70, v70, v46, s5
	v_cndmask_b32_e64 v102, v102, v26, s8
	s_delay_alu instid0(VALU_DEP_3) | instskip(SKIP_1) | instid1(VALU_DEP_3)
	v_cndmask_b32_e64 v103, v50, v26, s5
	v_cndmask_b32_e64 v50, v71, v31, s9
	;; [unrolled: 1-line block ×3, first 2 shown]
	s_delay_alu instid0(VALU_DEP_2) | instskip(SKIP_1) | instid1(VALU_DEP_3)
	v_cndmask_b32_e64 v104, v50, v32, s14
	v_cndmask_b32_e64 v50, v68, v8, s10
	;; [unrolled: 1-line block ×3, first 2 shown]
	s_delay_alu instid0(VALU_DEP_1)
	v_cndmask_b32_e64 v102, v102, v20, s14
	v_div_fixup_f64 v[78:79], v[82:83], v[80:81], v[78:79]
	v_cndmask_b32_e64 v80, v192, v74, s18
	v_cndmask_b32_e64 v74, v89, v88, s15
	;; [unrolled: 1-line block ×8, first 2 shown]
	s_delay_alu instid0(VALU_DEP_4) | instskip(NEXT) | instid1(VALU_DEP_4)
	v_cndmask_b32_e64 v75, v75, v98, s11
	v_cndmask_b32_e64 v82, v82, v94, s11
	s_delay_alu instid0(VALU_DEP_4) | instskip(NEXT) | instid1(VALU_DEP_4)
	v_cndmask_b32_e64 v74, v74, v46, s8
	v_cndmask_b32_e64 v68, v83, v97, s8
	;; [unrolled: 1-line block ×7, first 2 shown]
	s_delay_alu instid0(VALU_DEP_4) | instskip(NEXT) | instid1(VALU_DEP_4)
	v_cndmask_b32_e64 v75, v75, v81, s2
	v_cndmask_b32_e64 v82, v82, v80, s2
	s_delay_alu instid0(VALU_DEP_4) | instskip(SKIP_2) | instid1(VALU_DEP_3)
	v_cndmask_b32_e64 v71, v74, v27, s9
	v_cndmask_b32_e64 v74, v102, v21, s13
	v_cndmask_b32_e64 v102, v51, v24, s5
	v_cndmask_b32_e64 v71, v71, v28, s14
	s_delay_alu instid0(VALU_DEP_3)
	v_cndmask_b32_e64 v51, v74, v22, s10
	v_cndmask_b32_e64 v74, v101, v93, s8
	;; [unrolled: 1-line block ×10, first 2 shown]
	v_add_f64 v[40:41], -v[78:79], 1.0
	v_cndmask_b32_e64 v71, v103, v25, s2
	v_cndmask_b32_e64 v103, v70, v45, s2
	;; [unrolled: 1-line block ×13, first 2 shown]
	s_delay_alu instid0(VALU_DEP_4)
	v_cndmask_b32_e64 v102, v102, v14, s7
	v_mul_f64 v[70:71], v[72:73], v[40:41]
	v_mul_f64 v[50:51], v[50:51], v[40:41]
	v_mul_f64 v[68:69], v[68:69], v[40:41]
	v_cndmask_b32_e64 v73, v83, v58, s10
	v_cndmask_b32_e64 v72, v74, v54, s10
	;; [unrolled: 1-line block ×4, first 2 shown]
	s_delay_alu instid0(VALU_DEP_3) | instskip(NEXT) | instid1(VALU_DEP_3)
	v_mul_f64 v[40:41], v[72:73], v[40:41]
	v_cndmask_b32_e64 v74, v74, v28, s3
	s_delay_alu instid0(VALU_DEP_3) | instskip(SKIP_2) | instid1(VALU_DEP_4)
	v_cndmask_b32_e64 v73, v83, v22, s6
	v_cndmask_b32_e64 v72, v102, v8, s6
	;; [unrolled: 1-line block ×4, first 2 shown]
	v_fma_f64 v[70:71], v[76:77], v[78:79], v[70:71]
	v_lshlrev_b32_e32 v10, 2, v5
	v_fma_f64 v[72:73], v[72:73], v[78:79], v[50:51]
	v_cndmask_b32_e64 v51, v83, v34, s6
	v_cndmask_b32_e64 v50, v74, v30, s6
	;; [unrolled: 1-line block ×3, first 2 shown]
	v_add3_u32 v10, 16, v10, 40
	v_cndmask_b32_e64 v75, v82, v49, s4
	v_add_nc_u32_e64 v76, 16, 40
	v_fma_f64 v[68:69], v[50:51], v[78:79], v[68:69]
	v_cndmask_b32_e64 v50, v74, v56, s3
	scratch_load_b32 v10, v10, off
	v_cndmask_b32_e64 v51, v75, v52, s3
	v_cndmask_b32_e64 v50, v50, v57, s7
	s_delay_alu instid0(VALU_DEP_2) | instskip(NEXT) | instid1(VALU_DEP_2)
	v_cndmask_b32_e64 v74, v51, v53, s7
	v_cndmask_b32_e64 v51, v50, v58, s6
	s_delay_alu instid0(VALU_DEP_2) | instskip(NEXT) | instid1(VALU_DEP_1)
	v_cndmask_b32_e64 v50, v74, v54, s6
	v_fma_f64 v[74:75], v[50:51], v[78:79], v[40:41]
	s_waitcnt vmcnt(0)
	v_cmp_eq_u32_e32 vcc_lo, 3, v10
	v_cmp_eq_u32_e64 s2, 4, v10
	v_cmp_eq_u32_e64 s3, 2, v10
	;; [unrolled: 1-line block ×4, first 2 shown]
	v_cndmask_b32_e32 v117, v7, v71, vcc_lo
	v_cndmask_b32_e64 v82, v23, v72, s2
	v_dual_cndmask_b32 v111, v26, v73 :: v_dual_cndmask_b32 v110, v24, v72
	v_dual_cndmask_b32 v24, v48, v69 :: v_dual_cndmask_b32 v23, v46, v68
	;; [unrolled: 1-line block ×3, first 2 shown]
	v_cndmask_b32_e32 v182, v93, v74, vcc_lo
	v_cmp_eq_u32_e32 vcc_lo, 8, v10
	v_lshlrev_b32_e32 v4, 2, v10
	v_cndmask_b32_e64 v83, v25, v73, s2
	v_cndmask_b32_e64 v203, v47, v69, s2
	;; [unrolled: 1-line block ×4, first 2 shown]
	v_add3_u32 v4, 16, v4, 40
	v_cndmask_b32_e64 v108, v67, v72, s3
	v_cndmask_b32_e64 v247, v85, v73, s4
	;; [unrolled: 1-line block ×4, first 2 shown]
	scratch_load_b32 v4, v4, off
	v_cndmask_b32_e64 v250, v87, v68, s3
	v_cndmask_b32_e64 v241, v91, v69, s4
	;; [unrolled: 1-line block ×14, first 2 shown]
	v_cmp_eq_u32_e64 s3, 6, v10
	v_cmp_eq_u32_e64 s4, 5, v10
	v_cndmask_b32_e64 v249, v86, v73, s5
	v_cndmask_b32_e64 v248, v64, v72, s5
	;; [unrolled: 1-line block ×9, first 2 shown]
	s_waitcnt vmcnt(0)
	s_clause 0x8
	scratch_store_b32 off, v4, off offset:100
	scratch_store_b128 off, v[17:20], off offset:880
	scratch_store_b128 off, v[21:24], off offset:896
	scratch_store_b128 off, v[25:28], off offset:912
	scratch_store_b128 off, v[29:32], off offset:928
	scratch_store_b128 off, v[33:36], off offset:944
	scratch_store_b128 off, v[37:40], off offset:960
	scratch_store_b128 off, v[41:44], off offset:976
	scratch_store_b128 off, v[45:48], off offset:992
	v_cndmask_b32_e64 v127, v17, v71, s2
	v_cndmask_b32_e32 v17, v22, v73, vcc_lo
	v_cmp_eq_u32_e64 s2, 7, v10
	s_clause 0x7
	scratch_store_b128 off, v[0:3], off offset:3696
	scratch_store_b128 off, v[4:7], off offset:3712
	;; [unrolled: 1-line block ×8, first 2 shown]
	v_dual_cndmask_b32 v101, v58, v75 :: v_dual_cndmask_b32 v16, v8, v72
	s_clause 0x7
	scratch_store_b128 off, v[0:3], off offset:3824
	scratch_store_b128 off, v[4:7], off offset:3840
	scratch_store_b128 off, v[8:11], off offset:3856
	scratch_store_b128 off, v[12:15], off offset:3872
	scratch_store_b128 off, v[16:19], off offset:3888
	scratch_store_b128 off, v[20:23], off offset:3904
	scratch_store_b128 off, v[24:27], off offset:3920
	scratch_store_b128 off, v[28:31], off offset:3936
	v_cndmask_b32_e64 v16, v21, v73, s2
	s_clause 0x7
	scratch_store_b128 off, v[1:4], off offset:2160
	scratch_store_b128 off, v[5:8], off offset:2176
	scratch_store_b128 off, v[9:12], off offset:2192
	scratch_store_b128 off, v[13:16], off offset:2208
	scratch_store_b128 off, v[17:20], off offset:2224
	scratch_store_b128 off, v[21:24], off offset:2240
	scratch_store_b128 off, v[25:28], off offset:2256
	scratch_store_b128 off, v[29:32], off offset:2272
	v_cndmask_b32_e64 v14, v14, v72, s2
	;; [unrolled: 10-line block ×6, first 2 shown]
	s_clause 0x7
	scratch_store_b128 off, v[1:4], off offset:2544
	scratch_store_b128 off, v[5:8], off offset:2560
	;; [unrolled: 1-line block ×8, first 2 shown]
	v_cndmask_b32_e32 v17, v34, v69, vcc_lo
	s_clause 0x7
	scratch_store_b128 off, v[0:3], off offset:2928
	scratch_store_b128 off, v[4:7], off offset:2944
	;; [unrolled: 1-line block ×8, first 2 shown]
	v_cndmask_b32_e32 v16, v30, v68, vcc_lo
	s_clause 0x7
	scratch_store_b128 off, v[0:3], off offset:3184
	scratch_store_b128 off, v[4:7], off offset:3200
	scratch_store_b128 off, v[8:11], off offset:3216
	scratch_store_b128 off, v[12:15], off offset:3232
	scratch_store_b128 off, v[16:19], off offset:3248
	scratch_store_b128 off, v[20:23], off offset:3264
	scratch_store_b128 off, v[24:27], off offset:3280
	scratch_store_b128 off, v[28:31], off offset:3296
	v_cndmask_b32_e64 v15, v33, v69, s2
	s_clause 0x7
	scratch_store_b128 off, v[0:3], off offset:3056
	scratch_store_b128 off, v[4:7], off offset:3072
	scratch_store_b128 off, v[8:11], off offset:3088
	scratch_store_b128 off, v[12:15], off offset:3104
	scratch_store_b128 off, v[16:19], off offset:3120
	scratch_store_b128 off, v[20:23], off offset:3136
	scratch_store_b128 off, v[24:27], off offset:3152
	scratch_store_b128 off, v[28:31], off offset:3168
	v_cndmask_b32_e64 v14, v29, v68, s2
	;; [unrolled: 10-line block ×6, first 2 shown]
	s_clause 0x7
	scratch_store_b128 off, v[4:7], off offset:3568
	scratch_store_b128 off, v[8:11], off offset:3584
	;; [unrolled: 1-line block ×8, first 2 shown]
	v_cndmask_b32_e32 v17, v44, v71, vcc_lo
	s_clause 0x7
	scratch_store_b128 off, v[0:3], off offset:1392
	scratch_store_b128 off, v[4:7], off offset:1408
	;; [unrolled: 1-line block ×8, first 2 shown]
	v_cndmask_b32_e32 v16, v38, v70, vcc_lo
	s_clause 0x7
	scratch_store_b128 off, v[0:3], off offset:1648
	scratch_store_b128 off, v[4:7], off offset:1664
	scratch_store_b128 off, v[8:11], off offset:1680
	scratch_store_b128 off, v[12:15], off offset:1696
	scratch_store_b128 off, v[16:19], off offset:1712
	scratch_store_b128 off, v[20:23], off offset:1728
	scratch_store_b128 off, v[24:27], off offset:1744
	scratch_store_b128 off, v[28:31], off offset:1760
	v_cndmask_b32_e64 v15, v43, v71, s2
	s_clause 0x7
	scratch_store_b128 off, v[0:3], off offset:1520
	scratch_store_b128 off, v[4:7], off offset:1536
	scratch_store_b128 off, v[8:11], off offset:1552
	scratch_store_b128 off, v[12:15], off offset:1568
	scratch_store_b128 off, v[16:19], off offset:1584
	scratch_store_b128 off, v[20:23], off offset:1600
	scratch_store_b128 off, v[24:27], off offset:1616
	scratch_store_b128 off, v[28:31], off offset:1632
	v_cndmask_b32_e64 v14, v37, v70, s2
	;; [unrolled: 10-line block ×3, first 2 shown]
	v_cndmask_b32_e64 v15, v36, v70, s3
	s_clause 0x7
	scratch_store_b128 off, v[3:6], off offset:1904
	scratch_store_b128 off, v[7:10], off offset:1920
	scratch_store_b128 off, v[11:14], off offset:1936
	scratch_store_b128 off, v[15:18], off offset:1952
	scratch_store_b128 off, v[19:22], off offset:1968
	scratch_store_b128 off, v[23:26], off offset:1984
	scratch_store_b128 off, v[27:30], off offset:2000
	scratch_store_b128 off, v[31:34], off offset:2016
	v_cndmask_b32_e64 v15, v39, v71, s4
	s_clause 0x7
	scratch_store_b128 off, v[4:7], off offset:1008
	scratch_store_b128 off, v[8:11], off offset:1024
	scratch_store_b128 off, v[12:15], off offset:1040
	scratch_store_b128 off, v[16:19], off offset:1056
	scratch_store_b128 off, v[20:23], off offset:1072
	scratch_store_b128 off, v[24:27], off offset:1088
	scratch_store_b128 off, v[28:31], off offset:1104
	scratch_store_b128 off, v[32:35], off offset:1120
	v_cndmask_b32_e64 v15, v35, v70, s4
	s_clause 0x7
	scratch_store_b128 off, v[5:8], off offset:2032
	scratch_store_b128 off, v[9:12], off offset:2048
	scratch_store_b128 off, v[13:16], off offset:2064
	scratch_store_b128 off, v[17:20], off offset:2080
	scratch_store_b128 off, v[21:24], off offset:2096
	scratch_store_b128 off, v[25:28], off offset:2112
	scratch_store_b128 off, v[29:32], off offset:2128
	scratch_store_b128 off, v[33:36], off offset:2144
	v_cndmask_b32_e32 v16, v54, v74, vcc_lo
	s_clause 0x7
	scratch_store_b128 off, v[0:3], off offset:496
	scratch_store_b128 off, v[4:7], off offset:512
	scratch_store_b128 off, v[8:11], off offset:528
	scratch_store_b128 off, v[12:15], off offset:544
	scratch_store_b128 off, v[16:19], off offset:560
	scratch_store_b128 off, v[20:23], off offset:576
	scratch_store_b128 off, v[24:27], off offset:592
	scratch_store_b128 off, v[28:31], off offset:608
	v_cndmask_b32_e64 v15, v57, v75, s2
	s_clause 0x7
	scratch_store_b128 off, v[0:3], off offset:112
	scratch_store_b128 off, v[4:7], off offset:128
	scratch_store_b128 off, v[8:11], off offset:144
	scratch_store_b128 off, v[12:15], off offset:160
	scratch_store_b128 off, v[16:19], off offset:176
	scratch_store_b128 off, v[20:23], off offset:192
	scratch_store_b128 off, v[24:27], off offset:208
	scratch_store_b128 off, v[28:31], off offset:224
	v_cndmask_b32_e64 v15, v53, v74, s2
	;; [unrolled: 10-line block ×5, first 2 shown]
	s_clause 0x7
	scratch_store_b128 off, v[4:7], off offset:368
	scratch_store_b128 off, v[8:11], off offset:384
	scratch_store_b128 off, v[12:15], off offset:400
	scratch_store_b128 off, v[16:19], off offset:416
	scratch_store_b128 off, v[20:23], off offset:432
	scratch_store_b128 off, v[24:27], off offset:448
	scratch_store_b128 off, v[28:31], off offset:464
	scratch_store_b128 off, v[32:35], off offset:480
	v_mov_b32_e32 v74, v14
.LBB2_62:
	s_or_b32 exec_lo, exec_lo, s26
	s_mov_b32 s2, 0
	scratch_store_b32 off, v146, off offset:96
	s_mov_b32 s3, exec_lo
	s_clause 0x7
	scratch_load_b128 v[14:17], off, off offset:1008
	scratch_load_b128 v[18:21], off, off offset:1024
	;; [unrolled: 1-line block ×8, first 2 shown]
	v_mov_b32_e32 v80, v74
	s_and_b32 s0, s3, s0
	s_waitcnt vmcnt(5)
	v_mov_b32_e32 v14, v25
	s_mov_b32 exec_lo, s0
	s_cbranch_execz .LBB2_72
; %bb.63:
	v_cmp_gt_f64_e32 vcc_lo, 0, v[142:143]
	s_mov_b32 s4, 0
	s_branch .LBB2_65
.LBB2_64:                               ;   in Loop: Header=BB2_65 Depth=1
	s_or_b32 exec_lo, exec_lo, s0
	v_cmp_gt_i32_e64 s0, 0, v2
	v_mov_b32_e32 v107, v2
	s_delay_alu instid0(VALU_DEP_2) | instskip(NEXT) | instid1(SALU_CYCLE_1)
	s_or_b32 s4, s0, s4
	s_and_not1_b32 exec_lo, exec_lo, s4
	s_cbranch_execz .LBB2_71
.LBB2_65:                               ; =>This Inner Loop Header: Depth=1
	s_delay_alu instid0(VALU_DEP_1) | instskip(SKIP_1) | instid1(VALU_DEP_2)
	v_cmp_eq_u32_e64 s0, 1, v107
	v_cmp_eq_u32_e64 s2, 2, v107
	v_cndmask_b32_e64 v2, v253, v243, s0
	v_cndmask_b32_e64 v3, v252, v242, s0
	v_cmp_eq_u32_e64 s0, 3, v107
	s_delay_alu instid0(VALU_DEP_3) | instskip(NEXT) | instid1(VALU_DEP_3)
	v_cndmask_b32_e64 v2, v2, v229, s2
	v_cndmask_b32_e64 v3, v3, v228, s2
	s_mov_b32 s2, 0
	s_delay_alu instid0(VALU_DEP_2) | instskip(NEXT) | instid1(VALU_DEP_2)
	v_cndmask_b32_e64 v2, v2, v117, s0
	v_cndmask_b32_e64 v3, v3, v116, s0
	v_cmp_eq_u32_e64 s0, 4, v107
	s_delay_alu instid0(VALU_DEP_1) | instskip(NEXT) | instid1(VALU_DEP_3)
	v_cndmask_b32_e64 v2, v2, v127, s0
	v_cndmask_b32_e64 v3, v3, v126, s0
	v_cmp_eq_u32_e64 s0, 5, v107
	s_delay_alu instid0(VALU_DEP_1)
	v_cndmask_b32_e64 v2, v2, v14, s0
	s_clause 0x7
	scratch_load_b128 v[14:17], off, off offset:2032
	scratch_load_b128 v[18:21], off, off offset:2048
	;; [unrolled: 1-line block ×8, first 2 shown]
	s_waitcnt vmcnt(5)
	v_cndmask_b32_e64 v3, v3, v24, s0
	s_clause 0x7
	scratch_load_b128 v[14:17], off, off offset:1904
	scratch_load_b128 v[18:21], off, off offset:1920
	;; [unrolled: 1-line block ×8, first 2 shown]
	v_cmp_eq_u32_e64 s0, 6, v107
	s_delay_alu instid0(VALU_DEP_1)
	v_cndmask_b32_e64 v2, v2, v74, s0
	s_waitcnt vmcnt(4)
	v_cndmask_b32_e64 v3, v3, v26, s0
	s_clause 0x7
	scratch_load_b128 v[14:17], off, off offset:1520
	scratch_load_b128 v[18:21], off, off offset:1536
	;; [unrolled: 1-line block ×8, first 2 shown]
	v_cmp_eq_u32_e64 s0, 7, v107
	s_waitcnt vmcnt(4)
	s_delay_alu instid0(VALU_DEP_1)
	v_cndmask_b32_e64 v2, v2, v29, s0
	s_clause 0x7
	scratch_load_b128 v[14:17], off, off offset:1776
	scratch_load_b128 v[18:21], off, off offset:1792
	scratch_load_b128 v[22:25], off, off offset:1808
	scratch_load_b128 v[26:29], off, off offset:1824
	scratch_load_b128 v[30:33], off, off offset:1840
	scratch_load_b128 v[34:37], off, off offset:1856
	scratch_load_b128 v[38:41], off, off offset:1872
	scratch_load_b128 v[42:45], off, off offset:1888
	s_waitcnt vmcnt(4)
	v_cndmask_b32_e64 v4, v3, v28, s0
	s_clause 0x7
	scratch_load_b128 v[14:17], off, off offset:1392
	scratch_load_b128 v[18:21], off, off offset:1408
	;; [unrolled: 1-line block ×8, first 2 shown]
	v_cmp_eq_u32_e64 s0, 8, v107
	s_waitcnt vmcnt(3)
	s_delay_alu instid0(VALU_DEP_1)
	v_cndmask_b32_e64 v3, v2, v31, s0
	s_clause 0x7
	scratch_load_b128 v[14:17], off, off offset:1648
	scratch_load_b128 v[18:21], off, off offset:1664
	;; [unrolled: 1-line block ×8, first 2 shown]
	s_waitcnt vmcnt(3)
	v_cndmask_b32_e64 v2, v4, v30, s0
	v_lshl_add_u32 v4, v107, 2, v76
	s_delay_alu instid0(VALU_DEP_2) | instskip(SKIP_2) | instid1(SALU_CYCLE_1)
	v_cmp_ngt_f64_e64 s0, 0, v[2:3]
	scratch_load_b32 v2, v4, off
                                        ; implicit-def: $vgpr3
	s_and_saveexec_b32 s5, s0
	s_xor_b32 s5, exec_lo, s5
	s_cbranch_execz .LBB2_67
; %bb.66:                               ;   in Loop: Header=BB2_65 Depth=1
	scratch_load_b32 v3, off, off offset:96
                                        ; implicit-def: $vgpr4
	s_waitcnt vmcnt(0)
	v_cmp_eq_u32_e64 s0, -1, v3
	v_mov_b32_e32 v3, 0x60
	s_delay_alu instid0(VALU_DEP_2)
	s_and_b32 s2, s0, exec_lo
.LBB2_67:                               ;   in Loop: Header=BB2_65 Depth=1
	s_and_not1_saveexec_b32 s0, s5
	s_cbranch_execz .LBB2_69
; %bb.68:                               ;   in Loop: Header=BB2_65 Depth=1
	scratch_load_b32 v8, off, off offset:100
	v_mov_b32_e32 v3, 0x64
	s_or_b32 s2, s2, exec_lo
	s_waitcnt vmcnt(0)
	scratch_store_b32 v4, v8, off
.LBB2_69:                               ;   in Loop: Header=BB2_65 Depth=1
	s_or_b32 exec_lo, exec_lo, s0
	s_delay_alu instid0(SALU_CYCLE_1)
	s_mov_b32 s0, exec_lo
	s_clause 0x7
	scratch_load_b128 v[14:17], off, off offset:1008
	scratch_load_b128 v[18:21], off, off offset:1024
	;; [unrolled: 1-line block ×8, first 2 shown]
	v_mov_b32_e32 v74, v80
	s_and_b32 s2, s0, s2
	s_waitcnt vmcnt(5)
	v_mov_b32_e32 v14, v25
	s_mov_b32 exec_lo, s2
	s_cbranch_execz .LBB2_64
; %bb.70:                               ;   in Loop: Header=BB2_65 Depth=1
	scratch_store_b32 v3, v107, off
	s_branch .LBB2_64
.LBB2_71:
	s_or_b32 exec_lo, exec_lo, s4
	s_delay_alu instid0(SALU_CYCLE_1)
	s_and_b32 s2, vcc_lo, exec_lo
.LBB2_72:
	s_or_b32 exec_lo, exec_lo, s3
	s_and_saveexec_b32 s0, s1
; %bb.73:
	v_cmp_gt_f64_e32 vcc_lo, 0, v[105:106]
	v_lshlrev_b32_e32 v2, 2, v144
	v_lshlrev_b32_e32 v1, 2, v5
	v_lshlrev_b32_e32 v0, 2, v10
	s_delay_alu instid0(VALU_DEP_3) | instskip(NEXT) | instid1(VALU_DEP_3)
	v_add3_u32 v2, 16, v2, 40
	v_add3_u32 v1, 16, v1, 40
	s_delay_alu instid0(VALU_DEP_3) | instskip(SKIP_1) | instid1(SALU_CYCLE_1)
	v_add3_u32 v0, 16, v0, 40
	s_or_b32 s1, vcc_lo, s2
	v_cndmask_b32_e64 v3, v145, -1, s1
	s_clause 0x2
	scratch_store_b32 v2, v5, off
	scratch_store_b32 v1, v10, off
	;; [unrolled: 1-line block ×3, first 2 shown]
; %bb.74:
	s_or_b32 exec_lo, exec_lo, s0
	s_clause 0x1
	scratch_load_b128 v[0:3], off, off offset:56
	scratch_load_b128 v[8:11], off, off offset:72
	v_dual_mov_b32 v78, -1 :: v_dual_mov_b32 v105, 0
	v_dual_mov_b32 v107, -1 :: v_dual_mov_b32 v118, -1
	v_dual_mov_b32 v79, -1 :: v_dual_mov_b32 v106, 0
	s_waitcnt vmcnt(1)
	scratch_store_b128 off, v[0:3], off offset:16
	s_waitcnt vmcnt(0)
	scratch_store_b128 off, v[8:11], off offset:32
	s_clause 0x1
	scratch_load_b32 v0, off, off offset:88
	scratch_load_b32 v114, off, off offset:96
	s_waitcnt vmcnt(1)
	scratch_store_b32 off, v0, off offset:48
	s_clause 0x7
	scratch_load_b128 v[2:5], off, off offset:368
	scratch_load_b128 v[6:9], off, off offset:384
	;; [unrolled: 1-line block ×8, first 2 shown]
	s_waitcnt vmcnt(8)
	v_cmp_eq_u32_e32 vcc_lo, 1, v114
	v_cmp_eq_u32_e64 s0, 2, v114
	v_dual_cndmask_b32 v0, v237, v235 :: v_dual_cndmask_b32 v1, v236, v234
	v_cmp_eq_u32_e32 vcc_lo, 3, v114
	s_delay_alu instid0(VALU_DEP_2) | instskip(NEXT) | instid1(VALU_DEP_3)
	v_cndmask_b32_e64 v0, v0, v255, s0
	v_cndmask_b32_e64 v1, v1, v254, s0
	v_cmp_lt_i32_e64 s0, -1, v114
	s_delay_alu instid0(VALU_DEP_2) | instskip(SKIP_1) | instid1(VALU_DEP_2)
	v_dual_cndmask_b32 v0, v0, v183 :: v_dual_cndmask_b32 v1, v1, v182
	v_cmp_eq_u32_e32 vcc_lo, 4, v114
	v_dual_cndmask_b32 v0, v0, v193 :: v_dual_cndmask_b32 v1, v1, v192
	v_cmp_eq_u32_e32 vcc_lo, 5, v114
	s_waitcnt vmcnt(5)
	s_delay_alu instid0(VALU_DEP_2)
	v_dual_cndmask_b32 v1, v1, v154 :: v_dual_cndmask_b32 v0, v0, v13
	s_clause 0x7
	scratch_load_b128 v[2:5], off, off offset:240
	scratch_load_b128 v[6:9], off, off offset:256
	;; [unrolled: 1-line block ×8, first 2 shown]
	v_cmp_eq_u32_e32 vcc_lo, 6, v114
	s_waitcnt vmcnt(4)
	v_cndmask_b32_e32 v0, v0, v15, vcc_lo
	s_clause 0x7
	scratch_load_b128 v[2:5], off, off offset:752
	scratch_load_b128 v[6:9], off, off offset:768
	;; [unrolled: 1-line block ×8, first 2 shown]
	s_waitcnt vmcnt(4)
	v_cndmask_b32_e32 v1, v1, v14, vcc_lo
	s_clause 0x7
	scratch_load_b128 v[2:5], off, off offset:112
	scratch_load_b128 v[6:9], off, off offset:128
	;; [unrolled: 1-line block ×8, first 2 shown]
	v_cmp_eq_u32_e32 vcc_lo, 7, v114
	s_waitcnt vmcnt(4)
	v_cndmask_b32_e32 v0, v0, v17, vcc_lo
	s_clause 0x7
	scratch_load_b128 v[2:5], off, off offset:624
	scratch_load_b128 v[6:9], off, off offset:640
	;; [unrolled: 1-line block ×8, first 2 shown]
	s_waitcnt vmcnt(4)
	v_cndmask_b32_e32 v1, v1, v16, vcc_lo
	s_clause 0x8
	scratch_load_b128 v[4:7], off, off offset:496
	scratch_load_b128 v[8:11], off, off offset:512
	;; [unrolled: 1-line block ×8, first 2 shown]
	scratch_load_b32 v115, off, off offset:100
	v_cmp_eq_u32_e32 vcc_lo, 8, v114
	s_waitcnt vmcnt(7)
	v_dual_mov_b32 v8, v78 :: v_dual_mov_b32 v9, v79
	scratch_store_b32 off, v114, off offset:104
	s_waitcnt vmcnt(4)
	v_dual_cndmask_b32 v113, v0, v101 :: v_dual_cndmask_b32 v112, v1, v20
	s_waitcnt vmcnt(0)
	scratch_store_b32 off, v115, off offset:108
	s_and_saveexec_b32 s5, s0
	s_cbranch_execz .LBB2_78
; %bb.75:
	s_clause 0x7
	scratch_load_b128 v[13:16], off, off offset:112
	scratch_load_b128 v[17:20], off, off offset:128
	;; [unrolled: 1-line block ×8, first 2 shown]
	v_dual_mov_b32 v118, -1 :: v_dual_mov_b32 v9, v112
	v_dual_mov_b32 v107, -1 :: v_dual_mov_b32 v78, -1
	v_dual_mov_b32 v5, v114 :: v_dual_mov_b32 v8, -1
	s_mov_b32 s6, 0
	s_waitcnt vmcnt(4)
	v_mov_b32_e32 v16, v28
	s_clause 0x7
	scratch_load_b128 v[17:20], off, off offset:240
	scratch_load_b128 v[21:24], off, off offset:256
	;; [unrolled: 1-line block ×8, first 2 shown]
	s_waitcnt vmcnt(4)
	v_dual_mov_b32 v10, v113 :: v_dual_mov_b32 v17, v30
	s_clause 0x7
	scratch_load_b128 v[18:21], off, off offset:368
	scratch_load_b128 v[22:25], off, off offset:384
	scratch_load_b128 v[26:29], off, off offset:400
	scratch_load_b128 v[30:33], off, off offset:416
	scratch_load_b128 v[34:37], off, off offset:432
	scratch_load_b128 v[38:41], off, off offset:448
	scratch_load_b128 v[42:45], off, off offset:464
	scratch_load_b128 v[46:49], off, off offset:480
	s_waitcnt vmcnt(5)
	v_mov_b32_e32 v19, v29
	s_clause 0x7
	scratch_load_b128 v[20:23], off, off offset:496
	scratch_load_b128 v[24:27], off, off offset:512
	scratch_load_b128 v[28:31], off, off offset:528
	scratch_load_b128 v[32:35], off, off offset:544
	scratch_load_b128 v[36:39], off, off offset:560
	scratch_load_b128 v[40:43], off, off offset:576
	scratch_load_b128 v[44:47], off, off offset:592
	scratch_load_b128 v[48:51], off, off offset:608
	s_waitcnt vmcnt(3)
	v_mov_b32_e32 v20, v36
	;; [unrolled: 11-line block ×4, first 2 shown]
.LBB2_76:                               ; =>This Inner Loop Header: Depth=1
	s_delay_alu instid0(VALU_DEP_1) | instskip(SKIP_2) | instid1(VALU_DEP_1)
	v_lshl_add_u32 v0, v5, 2, v76
	scratch_load_b32 v15, v0, off
	v_dual_mov_b32 v106, v10 :: v_dual_mov_b32 v105, v9
	v_cmp_gt_f64_e64 s3, 0, v[105:106]
	s_waitcnt vmcnt(0)
	v_cmp_gt_i32_e32 vcc_lo, 0, v15
	v_cndmask_b32_e32 v18, v15, v114, vcc_lo
	s_delay_alu instid0(VALU_DEP_1) | instskip(SKIP_1) | instid1(VALU_DEP_2)
	v_cmp_eq_u32_e64 s1, 1, v18
	v_cmp_eq_u32_e64 s2, 2, v18
	v_cndmask_b32_e64 v0, v237, v235, s1
	v_cndmask_b32_e64 v1, v236, v234, s1
	v_cmp_eq_u32_e64 s1, 3, v18
	s_delay_alu instid0(VALU_DEP_3) | instskip(NEXT) | instid1(VALU_DEP_3)
	v_cndmask_b32_e64 v0, v0, v255, s2
	v_cndmask_b32_e64 v1, v1, v254, s2
	s_delay_alu instid0(VALU_DEP_2) | instskip(NEXT) | instid1(VALU_DEP_2)
	v_cndmask_b32_e64 v0, v0, v183, s1
	v_cndmask_b32_e64 v1, v1, v182, s1
	v_cmp_eq_u32_e64 s1, 4, v18
	s_delay_alu instid0(VALU_DEP_1) | instskip(NEXT) | instid1(VALU_DEP_3)
	v_cndmask_b32_e64 v0, v0, v193, s1
	v_cndmask_b32_e64 v1, v1, v192, s1
	v_cmp_eq_u32_e64 s1, 5, v18
	s_delay_alu instid0(VALU_DEP_1) | instskip(NEXT) | instid1(VALU_DEP_3)
	;; [unrolled: 4-line block ×5, first 2 shown]
	v_cndmask_b32_e64 v14, v0, v101, s1
	v_cndmask_b32_e64 v13, v1, v20, s1
	v_cmp_le_f64_e64 s1, 0, v[105:106]
	s_delay_alu instid0(VALU_DEP_2) | instskip(SKIP_2) | instid1(VALU_DEP_3)
	v_cmp_gt_f64_e64 s2, 0, v[13:14]
	v_cmp_le_f64_e64 s4, 0, v[13:14]
	v_dual_mov_b32 v9, v13 :: v_dual_mov_b32 v10, v14
	s_and_b32 s1, s1, s2
	s_delay_alu instid0(VALU_DEP_2)
	s_and_b32 s2, s3, s4
	v_cndmask_b32_e64 v8, v8, v18, s1
	v_cndmask_b32_e64 v118, v118, v18, s2
	;; [unrolled: 1-line block ×4, first 2 shown]
	v_mov_b32_e32 v5, v15
	s_or_b32 s6, vcc_lo, s6
	s_delay_alu instid0(SALU_CYCLE_1)
	s_and_not1_b32 exec_lo, exec_lo, s6
	s_cbranch_execnz .LBB2_76
; %bb.77:
	s_or_b32 exec_lo, exec_lo, s6
.LBB2_78:
	s_delay_alu instid0(SALU_CYCLE_1) | instskip(SKIP_3) | instid1(VALU_DEP_3)
	s_or_b32 exec_lo, exec_lo, s5
	v_cmp_lt_i32_e64 s1, -1, v107
	v_dual_mov_b32 v119, -1 :: v_dual_mov_b32 v14, -1
	v_mov_b32_e32 v29, -1
	s_and_saveexec_b32 s26, s1
	s_cbranch_execz .LBB2_80
; %bb.79:
	s_clause 0x7
	scratch_load_b128 v[13:16], off, off offset:368
	scratch_load_b128 v[17:20], off, off offset:384
	;; [unrolled: 1-line block ×8, first 2 shown]
	v_cmp_eq_u32_e64 s2, 1, v8
	v_cmp_eq_u32_e64 s3, 2, v8
	;; [unrolled: 1-line block ×5, first 2 shown]
	v_cndmask_b32_e64 v9, v237, v235, s2
	v_cmp_eq_u32_e64 s7, 6, v8
	v_cmp_eq_u32_e64 s8, 7, v8
	v_cmp_eq_u32_e64 s9, 8, v8
	v_cndmask_b32_e64 v8, v236, v234, s2
	v_cndmask_b32_e64 v9, v9, v255, s3
	v_cmp_eq_u32_e64 s11, 1, v107
	v_cmp_eq_u32_e64 s12, 2, v107
	v_cmp_eq_u32_e64 s13, 3, v107
	v_cndmask_b32_e64 v8, v8, v254, s3
	;; [unrolled: 5-line block ×4, first 2 shown]
	v_cmp_eq_u32_e64 s22, 5, v115
	v_cmp_eq_u32_e64 s10, 3, v115
	v_cmp_eq_u32_e64 s14, 4, v115
	v_cmp_eq_u32_e64 s21, 6, v115
	v_cndmask_b32_e64 v8, v8, v154, s6
	s_waitcnt vmcnt(5)
	v_mov_b32_e32 v74, v24
	s_clause 0xf
	scratch_load_b128 v[13:16], off, off offset:240
	scratch_load_b128 v[17:20], off, off offset:256
	;; [unrolled: 1-line block ×16, first 2 shown]
	s_waitcnt vmcnt(12)
	v_mov_b32_e32 v67, v26
	s_clause 0x7
	scratch_load_b128 v[13:16], off, off offset:752
	scratch_load_b128 v[17:20], off, off offset:768
	scratch_load_b128 v[21:24], off, off offset:784
	scratch_load_b128 v[25:28], off, off offset:800
	scratch_load_b128 v[29:32], off, off offset:816
	scratch_load_b128 v[33:36], off, off offset:832
	scratch_load_b128 v[37:40], off, off offset:848
	scratch_load_b128 v[41:44], off, off offset:864
	v_cndmask_b32_e64 v9, v9, v74, s6
	s_delay_alu instid0(VALU_DEP_1) | instskip(SKIP_1) | instid1(VALU_DEP_1)
	v_cndmask_b32_e64 v9, v9, v67, s7
	s_waitcnt vmcnt(12)
	v_cndmask_b32_e64 v9, v9, v50, s8
	s_delay_alu instid0(VALU_DEP_1) | instskip(SKIP_1) | instid1(VALU_DEP_1)
	v_cndmask_b32_e64 v46, v9, v101, s9
	v_cndmask_b32_e64 v9, v236, v234, s11
	;; [unrolled: 1-line block ×3, first 2 shown]
	s_delay_alu instid0(VALU_DEP_1) | instskip(NEXT) | instid1(VALU_DEP_1)
	v_cndmask_b32_e64 v9, v9, v182, s13
	v_cndmask_b32_e64 v9, v9, v192, s15
	s_delay_alu instid0(VALU_DEP_1)
	v_cndmask_b32_e64 v9, v9, v154, s16
	s_waitcnt vmcnt(4)
	v_mov_b32_e32 v60, v25
	s_clause 0x7
	scratch_load_b128 v[13:16], off, off offset:624
	scratch_load_b128 v[17:20], off, off offset:640
	;; [unrolled: 1-line block ×8, first 2 shown]
	s_waitcnt vmcnt(4)
	v_mov_b32_e32 v59, v27
	s_clause 0x7
	scratch_load_b128 v[13:16], off, off offset:496
	scratch_load_b128 v[17:20], off, off offset:512
	;; [unrolled: 1-line block ×8, first 2 shown]
	v_cndmask_b32_e64 v8, v8, v60, s7
	v_cndmask_b32_e64 v9, v9, v60, s17
	s_delay_alu instid0(VALU_DEP_2) | instskip(NEXT) | instid1(VALU_DEP_2)
	v_cndmask_b32_e64 v8, v8, v59, s8
	v_cndmask_b32_e64 v9, v9, v59, s18
	s_waitcnt vmcnt(3)
	v_mov_b32_e32 v51, v29
	s_delay_alu instid0(VALU_DEP_1) | instskip(SKIP_2) | instid1(VALU_DEP_2)
	v_cndmask_b32_e64 v45, v8, v51, s9
	v_cndmask_b32_e64 v8, v237, v235, s11
	;; [unrolled: 1-line block ×4, first 2 shown]
	s_delay_alu instid0(VALU_DEP_1) | instskip(NEXT) | instid1(VALU_DEP_1)
	v_cndmask_b32_e64 v8, v8, v183, s13
	v_cndmask_b32_e64 v8, v8, v193, s15
	s_delay_alu instid0(VALU_DEP_1) | instskip(NEXT) | instid1(VALU_DEP_1)
	v_cndmask_b32_e64 v8, v8, v74, s16
	v_cndmask_b32_e64 v8, v8, v67, s17
	;; [unrolled: 3-line block ×3, first 2 shown]
	v_add_f64 v[8:9], -v[45:46], 0
	s_delay_alu instid0(VALU_DEP_2) | instskip(NEXT) | instid1(VALU_DEP_1)
	v_add_f64 v[13:14], v[47:48], -v[45:46]
	v_div_scale_f64 v[18:19], null, v[13:14], v[13:14], v[8:9]
	s_delay_alu instid0(VALU_DEP_1) | instskip(SKIP_2) | instid1(VALU_DEP_1)
	v_rcp_f64_e32 v[20:21], v[18:19]
	s_waitcnt_depctr 0xfff
	v_fma_f64 v[22:23], -v[18:19], v[20:21], 1.0
	v_fma_f64 v[20:21], v[20:21], v[22:23], v[20:21]
	s_delay_alu instid0(VALU_DEP_1) | instskip(NEXT) | instid1(VALU_DEP_1)
	v_fma_f64 v[22:23], -v[18:19], v[20:21], 1.0
	v_fma_f64 v[20:21], v[20:21], v[22:23], v[20:21]
	v_div_scale_f64 v[22:23], vcc_lo, v[8:9], v[13:14], v[8:9]
	s_delay_alu instid0(VALU_DEP_1) | instskip(NEXT) | instid1(VALU_DEP_1)
	v_mul_f64 v[24:25], v[22:23], v[20:21]
	v_fma_f64 v[18:19], -v[18:19], v[24:25], v[22:23]
	s_delay_alu instid0(VALU_DEP_1) | instskip(SKIP_1) | instid1(VALU_DEP_2)
	v_div_fmas_f64 v[18:19], v[18:19], v[20:21], v[24:25]
	v_cmp_eq_u32_e32 vcc_lo, 8, v115
	v_div_fixup_f64 v[55:56], v[18:19], v[13:14], v[8:9]
	s_clause 0x7
	scratch_load_b128 v[13:16], off, off offset:2416
	scratch_load_b128 v[17:20], off, off offset:2432
	;; [unrolled: 1-line block ×8, first 2 shown]
	v_cndmask_b32_e64 v8, v249, v247, s11
	v_cndmask_b32_e64 v9, v248, v246, s11
	s_delay_alu instid0(VALU_DEP_2) | instskip(NEXT) | instid1(VALU_DEP_2)
	v_cndmask_b32_e64 v8, v8, v109, s12
	v_cndmask_b32_e64 v9, v9, v108, s12
	s_delay_alu instid0(VALU_DEP_2) | instskip(NEXT) | instid1(VALU_DEP_2)
	;; [unrolled: 3-line block ×3, first 2 shown]
	v_cndmask_b32_e64 v8, v8, v83, s15
	v_cndmask_b32_e64 v9, v9, v82, s15
	s_waitcnt vmcnt(5)
	v_mov_b32_e32 v53, v24
	s_clause 0x7
	scratch_load_b128 v[13:16], off, off offset:2544
	scratch_load_b128 v[17:20], off, off offset:2560
	;; [unrolled: 1-line block ×8, first 2 shown]
	s_waitcnt vmcnt(5)
	v_mov_b32_e32 v54, v23
	s_clause 0x7
	scratch_load_b128 v[13:16], off, off offset:2288
	scratch_load_b128 v[17:20], off, off offset:2304
	;; [unrolled: 1-line block ×8, first 2 shown]
	v_cndmask_b32_e64 v9, v9, v54, s16
	s_waitcnt vmcnt(4)
	v_mov_b32_e32 v52, v26
	s_clause 0x7
	scratch_load_b128 v[13:16], off, off offset:2672
	scratch_load_b128 v[17:20], off, off offset:2688
	scratch_load_b128 v[21:24], off, off offset:2704
	scratch_load_b128 v[25:28], off, off offset:2720
	scratch_load_b128 v[29:32], off, off offset:2736
	scratch_load_b128 v[33:36], off, off offset:2752
	scratch_load_b128 v[37:40], off, off offset:2768
	scratch_load_b128 v[41:44], off, off offset:2784
	v_cndmask_b32_e64 v8, v8, v53, s16
	s_delay_alu instid0(VALU_DEP_1)
	v_cndmask_b32_e64 v8, v8, v52, s17
	s_waitcnt vmcnt(4)
	v_mov_b32_e32 v61, v25
	s_clause 0x7
	scratch_load_b128 v[13:16], off, off offset:2160
	scratch_load_b128 v[17:20], off, off offset:2176
	scratch_load_b128 v[21:24], off, off offset:2192
	scratch_load_b128 v[25:28], off, off offset:2208
	scratch_load_b128 v[29:32], off, off offset:2224
	scratch_load_b128 v[33:36], off, off offset:2240
	scratch_load_b128 v[37:40], off, off offset:2256
	scratch_load_b128 v[41:44], off, off offset:2272
	s_waitcnt vmcnt(4)
	v_mov_b32_e32 v49, v28
	s_clause 0x7
	scratch_load_b128 v[13:16], off, off offset:2800
	scratch_load_b128 v[17:20], off, off offset:2816
	scratch_load_b128 v[21:24], off, off offset:2832
	scratch_load_b128 v[25:28], off, off offset:2848
	scratch_load_b128 v[29:32], off, off offset:2864
	scratch_load_b128 v[33:36], off, off offset:2880
	scratch_load_b128 v[37:40], off, off offset:2896
	scratch_load_b128 v[41:44], off, off offset:2912
	;; [unrolled: 11-line block ×3, first 2 shown]
	v_cndmask_b32_e64 v9, v9, v61, s17
	s_delay_alu instid0(VALU_DEP_1) | instskip(SKIP_4) | instid1(VALU_DEP_1)
	v_cndmask_b32_e64 v57, v9, v62, s18
	s_waitcnt vmcnt(3)
	v_mov_b32_e32 v32, v30
	v_cndmask_b32_e64 v8, v8, v49, s18
	s_waitcnt vmcnt(2)
	v_cndmask_b32_e64 v34, v8, v32, s19
	s_clause 0x7
	scratch_load_b128 v[0:3], off, off offset:3824
	scratch_load_b128 v[4:7], off, off offset:3840
	;; [unrolled: 1-line block ×8, first 2 shown]
	s_waitcnt vmcnt(5)
	v_cndmask_b32_e64 v10, v249, v247, s2
	s_waitcnt vmcnt(4)
	v_cndmask_b32_e64 v13, v248, v246, s2
	;; [unrolled: 2-line block ×3, first 2 shown]
	v_cndmask_b32_e64 v23, v244, v240, s11
	v_cndmask_b32_e64 v10, v10, v109, s3
	;; [unrolled: 1-line block ×3, first 2 shown]
	s_delay_alu instid0(VALU_DEP_4) | instskip(NEXT) | instid1(VALU_DEP_4)
	v_cndmask_b32_e64 v21, v21, v250, s3
	v_cndmask_b32_e64 v23, v23, v250, s12
	s_delay_alu instid0(VALU_DEP_4) | instskip(NEXT) | instid1(VALU_DEP_4)
	v_cndmask_b32_e64 v10, v10, v111, s4
	v_cndmask_b32_e64 v13, v13, v110, s4
	s_delay_alu instid0(VALU_DEP_2) | instskip(NEXT) | instid1(VALU_DEP_2)
	v_cndmask_b32_e64 v10, v10, v83, s5
	v_cndmask_b32_e64 v13, v13, v82, s5
	s_delay_alu instid0(VALU_DEP_2) | instskip(NEXT) | instid1(VALU_DEP_2)
	;; [unrolled: 3-line block ×4, first 2 shown]
	v_cndmask_b32_e64 v10, v10, v49, s8
	v_cndmask_b32_e64 v13, v13, v62, s8
	s_delay_alu instid0(VALU_DEP_2) | instskip(SKIP_2) | instid1(VALU_DEP_4)
	v_cndmask_b32_e64 v14, v10, v32, s9
	v_cndmask_b32_e64 v33, v57, v16, s19
	v_add_f64 v[57:58], -v[55:56], 1.0
	v_cndmask_b32_e64 v13, v13, v16, s9
	s_delay_alu instid0(VALU_DEP_1) | instskip(SKIP_1) | instid1(VALU_DEP_2)
	v_mul_f64 v[13:14], v[13:14], v[57:58]
	v_mul_f64 v[45:46], v[45:46], v[57:58]
	v_fma_f64 v[68:69], v[33:34], v[55:56], v[13:14]
	v_cndmask_b32_e64 v14, v245, v241, s2
	s_delay_alu instid0(VALU_DEP_3) | instskip(NEXT) | instid1(VALU_DEP_2)
	v_fma_f64 v[63:64], v[47:48], v[55:56], v[45:46]
	v_cndmask_b32_e64 v14, v14, v251, s3
	s_delay_alu instid0(VALU_DEP_4)
	v_cndmask_b32_e32 v8, v16, v68, vcc_lo
	v_dual_mov_b32 v16, v202 :: v_dual_mov_b32 v17, v203
	s_clause 0x7
	scratch_load_b128 v[194:197], off, off offset:880
	scratch_load_b128 v[198:201], off, off offset:896
	;; [unrolled: 1-line block ×8, first 2 shown]
	v_cndmask_b32_e64 v13, v54, v68, s22
	v_cndmask_b32_e64 v19, v49, v69, s20
	;; [unrolled: 1-line block ×9, first 2 shown]
	s_waitcnt vmcnt(8)
	v_cndmask_b32_e64 v29, v82, v68, s14
	v_cndmask_b32_e64 v30, v110, v68, s10
	v_cndmask_b32_e32 v48, v51, v63, vcc_lo
	v_cndmask_b32_e64 v51, v193, v64, s14
	v_cndmask_b32_e64 v31, v83, v69, s14
	s_waitcnt vmcnt(6)
	v_dual_mov_b32 v33, v200 :: v_dual_mov_b32 v34, v201
	s_clause 0x7
	scratch_load_b128 v[194:197], off, off offset:1264
	scratch_load_b128 v[198:201], off, off offset:1280
	scratch_load_b128 v[202:205], off, off offset:1296
	scratch_load_b128 v[206:209], off, off offset:1312
	scratch_load_b128 v[210:213], off, off offset:1328
	scratch_load_b128 v[214:217], off, off offset:1344
	scratch_load_b128 v[218:221], off, off offset:1360
	scratch_load_b128 v[222:225], off, off offset:1376
	v_cndmask_b32_e64 v21, v21, v33, s4
	v_cndmask_b32_e64 v23, v23, v33, s13
	s_delay_alu instid0(VALU_DEP_2) | instskip(NEXT) | instid1(VALU_DEP_2)
	v_cndmask_b32_e64 v21, v21, v16, s5
	v_cndmask_b32_e64 v23, v23, v16, s15
	s_waitcnt vmcnt(5)
	v_mov_b32_e32 v36, v205
	s_clause 0x7
	scratch_load_b128 v[194:197], off, off offset:3568
	scratch_load_b128 v[198:201], off, off offset:3584
	scratch_load_b128 v[202:205], off, off offset:3600
	scratch_load_b128 v[206:209], off, off offset:3616
	scratch_load_b128 v[210:213], off, off offset:3632
	scratch_load_b128 v[214:217], off, off offset:3648
	scratch_load_b128 v[218:221], off, off offset:3664
	scratch_load_b128 v[222:225], off, off offset:3680
	s_waitcnt vmcnt(5)
	v_mov_b32_e32 v38, v204
	s_clause 0x7
	scratch_load_b128 v[194:197], off, off offset:1136
	scratch_load_b128 v[198:201], off, off offset:1152
	;; [unrolled: 1-line block ×8, first 2 shown]
	v_cndmask_b32_e32 v20, v32, v69, vcc_lo
	v_cndmask_b32_e64 v32, v111, v69, s10
	s_waitcnt vmcnt(4)
	v_mov_b32_e32 v35, v207
	s_clause 0x7
	scratch_load_b128 v[194:197], off, off offset:3440
	scratch_load_b128 v[198:201], off, off offset:3456
	;; [unrolled: 1-line block ×8, first 2 shown]
	s_waitcnt vmcnt(4)
	v_mov_b32_e32 v37, v206
	s_clause 0x7
	scratch_load_b128 v[194:197], off, off offset:3056
	scratch_load_b128 v[198:201], off, off offset:3072
	;; [unrolled: 1-line block ×8, first 2 shown]
	v_cndmask_b32_e64 v14, v14, v34, s4
	s_delay_alu instid0(VALU_DEP_1)
	v_cndmask_b32_e64 v14, v14, v17, s5
	s_waitcnt vmcnt(4)
	v_mov_b32_e32 v26, v209
	s_clause 0x7
	scratch_load_b128 v[194:197], off, off offset:3312
	scratch_load_b128 v[198:201], off, off offset:3328
	scratch_load_b128 v[202:205], off, off offset:3344
	scratch_load_b128 v[206:209], off, off offset:3360
	scratch_load_b128 v[210:213], off, off offset:3376
	scratch_load_b128 v[214:217], off, off offset:3392
	scratch_load_b128 v[218:221], off, off offset:3408
	scratch_load_b128 v[222:225], off, off offset:3424
	s_waitcnt vmcnt(4)
	v_mov_b32_e32 v28, v208
	s_clause 0x7
	scratch_load_b128 v[194:197], off, off offset:2928
	scratch_load_b128 v[198:201], off, off offset:2944
	scratch_load_b128 v[202:205], off, off offset:2960
	scratch_load_b128 v[206:209], off, off offset:2976
	scratch_load_b128 v[210:213], off, off offset:2992
	scratch_load_b128 v[214:217], off, off offset:3008
	scratch_load_b128 v[218:221], off, off offset:3024
	scratch_load_b128 v[222:225], off, off offset:3040
	;; [unrolled: 11-line block ×3, first 2 shown]
	v_cndmask_b32_e64 v14, v14, v36, s6
	s_delay_alu instid0(VALU_DEP_1) | instskip(NEXT) | instid1(VALU_DEP_1)
	v_cndmask_b32_e64 v14, v14, v35, s7
	v_cndmask_b32_e64 v14, v14, v26, s8
	s_delay_alu instid0(VALU_DEP_1) | instskip(SKIP_1) | instid1(VALU_DEP_1)
	v_cndmask_b32_e64 v22, v14, v25, s9
	v_cndmask_b32_e64 v14, v245, v241, s11
	;; [unrolled: 1-line block ×3, first 2 shown]
	s_delay_alu instid0(VALU_DEP_1) | instskip(NEXT) | instid1(VALU_DEP_1)
	v_cndmask_b32_e64 v14, v14, v34, s13
	v_cndmask_b32_e64 v14, v14, v17, s15
	s_delay_alu instid0(VALU_DEP_1) | instskip(NEXT) | instid1(VALU_DEP_1)
	v_cndmask_b32_e64 v14, v14, v36, s16
	v_cndmask_b32_e64 v14, v14, v35, s17
	;; [unrolled: 3-line block ×3, first 2 shown]
	v_cndmask_b32_e64 v14, v253, v243, s2
	s_delay_alu instid0(VALU_DEP_1) | instskip(NEXT) | instid1(VALU_DEP_1)
	v_cndmask_b32_e64 v14, v14, v229, s3
	v_cndmask_b32_e64 v14, v14, v117, s4
	s_delay_alu instid0(VALU_DEP_1)
	v_cndmask_b32_e64 v14, v14, v127, s5
	s_waitcnt vmcnt(3)
	v_mov_b32_e32 v27, v210
	s_clause 0x7
	scratch_load_b128 v[194:197], off, off offset:1008
	scratch_load_b128 v[198:201], off, off offset:1024
	;; [unrolled: 1-line block ×8, first 2 shown]
	v_cndmask_b32_e64 v21, v21, v38, s6
	v_cndmask_b32_e64 v23, v23, v38, s16
	s_delay_alu instid0(VALU_DEP_2) | instskip(NEXT) | instid1(VALU_DEP_2)
	v_cndmask_b32_e64 v21, v21, v37, s7
	v_cndmask_b32_e64 v23, v23, v37, s17
	s_delay_alu instid0(VALU_DEP_2) | instskip(NEXT) | instid1(VALU_DEP_2)
	;; [unrolled: 3-line block ×3, first 2 shown]
	v_cndmask_b32_e64 v21, v21, v27, s9
	v_cndmask_b32_e64 v23, v23, v27, s19
	s_delay_alu instid0(VALU_DEP_2) | instskip(NEXT) | instid1(VALU_DEP_1)
	v_mul_f64 v[21:22], v[21:22], v[57:58]
	v_fma_f64 v[70:71], v[23:24], v[55:56], v[21:22]
	s_delay_alu instid0(VALU_DEP_1) | instskip(NEXT) | instid1(VALU_DEP_2)
	v_cndmask_b32_e64 v23, v28, v70, s20
	v_cndmask_b32_e32 v28, v25, v71, vcc_lo
	v_cndmask_b32_e64 v25, v36, v71, s22
	v_cndmask_b32_e64 v54, v34, v71, s10
	;; [unrolled: 1-line block ×8, first 2 shown]
	v_cmp_eq_u32_e64 s2, 6, v118
	s_delay_alu instid0(VALU_DEP_4) | instskip(SKIP_1) | instid1(VALU_DEP_2)
	v_cndmask_b32_e64 v33, v33, v228, s3
	v_cmp_eq_u32_e64 s3, 5, v118
	v_cndmask_b32_e64 v33, v33, v116, s4
	v_cmp_eq_u32_e64 s4, 4, v118
	s_delay_alu instid0(VALU_DEP_2)
	v_cndmask_b32_e64 v33, v33, v126, s5
	v_cmp_eq_u32_e64 s5, 7, v118
	s_waitcnt vmcnt(5)
	v_mov_b32_e32 v36, v205
	s_clause 0x7
	scratch_load_b128 v[194:197], off, off offset:2032
	scratch_load_b128 v[198:201], off, off offset:2048
	;; [unrolled: 1-line block ×8, first 2 shown]
	v_cndmask_b32_e64 v14, v14, v36, s6
	s_delay_alu instid0(VALU_DEP_1)
	v_cndmask_b32_e64 v14, v14, v80, s7
	s_waitcnt vmcnt(5)
	v_mov_b32_e32 v42, v204
	s_clause 0x7
	scratch_load_b128 v[194:197], off, off offset:1904
	scratch_load_b128 v[198:201], off, off offset:1920
	;; [unrolled: 1-line block ×8, first 2 shown]
	v_cndmask_b32_e64 v33, v33, v42, s6
	v_cmp_eq_u32_e64 s6, 8, v118
	s_waitcnt vmcnt(4)
	v_mov_b32_e32 v41, v206
	s_clause 0x7
	scratch_load_b128 v[194:197], off, off offset:1520
	scratch_load_b128 v[198:201], off, off offset:1536
	;; [unrolled: 1-line block ×8, first 2 shown]
	v_cndmask_b32_e64 v33, v33, v41, s7
	v_cmp_eq_u32_e64 s7, 3, v118
	s_waitcnt vmcnt(4)
	v_mov_b32_e32 v16, v209
	s_clause 0x7
	scratch_load_b128 v[194:197], off, off offset:1776
	scratch_load_b128 v[198:201], off, off offset:1792
	;; [unrolled: 1-line block ×8, first 2 shown]
	v_cndmask_b32_e64 v14, v14, v16, s8
	s_waitcnt vmcnt(4)
	v_mov_b32_e32 v40, v208
	s_clause 0x7
	scratch_load_b128 v[194:197], off, off offset:1392
	scratch_load_b128 v[198:201], off, off offset:1408
	;; [unrolled: 1-line block ×8, first 2 shown]
	v_cndmask_b32_e64 v33, v33, v40, s8
	v_cmp_eq_u32_e64 s8, 8, v78
	s_waitcnt vmcnt(3)
	v_mov_b32_e32 v17, v211
	s_clause 0x7
	scratch_load_b128 v[194:197], off, off offset:1648
	scratch_load_b128 v[198:201], off, off offset:1664
	;; [unrolled: 1-line block ×8, first 2 shown]
	v_cndmask_b32_e32 v24, v27, v70, vcc_lo
	v_cndmask_b32_e64 v27, v26, v71, s20
	v_cndmask_b32_e64 v26, v35, v71, s21
	;; [unrolled: 1-line block ×5, first 2 shown]
	v_cmp_eq_u32_e64 s11, 6, v78
	s_delay_alu instid0(VALU_DEP_3) | instskip(NEXT) | instid1(VALU_DEP_3)
	v_cndmask_b32_e64 v14, v14, v229, s12
	v_cndmask_b32_e64 v35, v35, v228, s12
	v_cmp_eq_u32_e64 s12, 1, v78
	s_delay_alu instid0(VALU_DEP_3) | instskip(NEXT) | instid1(VALU_DEP_3)
	v_cndmask_b32_e64 v14, v14, v117, s13
	v_cndmask_b32_e64 v35, v35, v116, s13
	;; [unrolled: 4-line block ×6, first 2 shown]
	v_cmp_eq_u32_e64 s18, 2, v118
	s_delay_alu instid0(VALU_DEP_3) | instskip(SKIP_1) | instid1(VALU_DEP_1)
	v_cndmask_b32_e64 v39, v14, v17, s19
	v_lshlrev_b32_e32 v14, 2, v115
	v_add3_u32 v14, 16, v14, 40
	scratch_load_b32 v14, v14, off
	s_waitcnt vmcnt(4)
	v_mov_b32_e32 v37, v210
	s_delay_alu instid0(VALU_DEP_1) | instskip(SKIP_3) | instid1(VALU_DEP_4)
	v_cndmask_b32_e64 v33, v33, v37, s9
	v_cndmask_b32_e64 v38, v35, v37, s19
	v_cmp_eq_u32_e64 s19, 1, v118
	v_cmp_eq_u32_e64 s9, 7, v78
	v_mul_f64 v[33:34], v[33:34], v[57:58]
	v_cndmask_b32_e64 v57, v50, v64, s20
	v_cndmask_b32_e64 v50, v192, v63, s14
	s_delay_alu instid0(VALU_DEP_3) | instskip(SKIP_2) | instid1(VALU_DEP_3)
	v_fma_f64 v[72:73], v[38:39], v[55:56], v[33:34]
	v_cndmask_b32_e64 v56, v67, v64, s21
	v_cndmask_b32_e64 v55, v74, v64, s22
	;; [unrolled: 1-line block ×7, first 2 shown]
	v_cmp_eq_u32_e64 s20, 1, v115
	v_cmp_eq_u32_e64 s21, 0, v115
	v_cndmask_b32_e64 v39, v36, v73, s22
	v_cmp_eq_u32_e64 s22, 2, v115
	v_cndmask_b32_e32 v58, v101, v64, vcc_lo
	v_cndmask_b32_e64 v59, v234, v63, s20
	v_cndmask_b32_e64 v62, v235, v64, s20
	;; [unrolled: 1-line block ×15, first 2 shown]
	v_cndmask_b32_e32 v38, v37, v72, vcc_lo
	v_cndmask_b32_e64 v68, v68, v64, s16
	v_cndmask_b32_e64 v74, v74, v63, s16
	;; [unrolled: 1-line block ×4, first 2 shown]
	v_cndmask_b32_e32 v44, v17, v73, vcc_lo
	v_cndmask_b32_e64 v68, v68, v41, s17
	v_cndmask_b32_e64 v74, v74, v40, s17
	;; [unrolled: 1-line block ×31, first 2 shown]
	v_add_f64 v[78:79], -v[74:75], 0
	v_cndmask_b32_e64 v17, v17, v29, s15
	v_add_f64 v[80:81], v[76:77], -v[74:75]
	v_cndmask_b32_e64 v90, v251, v71, s22
	v_cndmask_b32_e64 v95, v242, v72, s20
	;; [unrolled: 1-line block ×12, first 2 shown]
	s_delay_alu instid0(VALU_DEP_1) | instskip(SKIP_2) | instid1(VALU_DEP_2)
	v_cndmask_b32_e64 v68, v68, v90, s18
	v_div_scale_f64 v[82:83], null, v[80:81], v[80:81], v[78:79]
	v_div_scale_f64 v[88:89], vcc_lo, v[78:79], v[80:81], v[78:79]
	v_rcp_f64_e32 v[84:85], v[82:83]
	s_waitcnt_depctr 0xfff
	v_fma_f64 v[86:87], -v[82:83], v[84:85], 1.0
	s_delay_alu instid0(VALU_DEP_1) | instskip(NEXT) | instid1(VALU_DEP_1)
	v_fma_f64 v[84:85], v[84:85], v[86:87], v[84:85]
	v_fma_f64 v[86:87], -v[82:83], v[84:85], 1.0
	s_delay_alu instid0(VALU_DEP_1) | instskip(NEXT) | instid1(VALU_DEP_1)
	v_fma_f64 v[84:85], v[84:85], v[86:87], v[84:85]
	v_mul_f64 v[86:87], v[88:89], v[84:85]
	s_delay_alu instid0(VALU_DEP_1) | instskip(SKIP_2) | instid1(VALU_DEP_1)
	v_fma_f64 v[82:83], -v[82:83], v[86:87], v[88:89]
	v_cndmask_b32_e64 v88, v240, v70, s20
	v_cndmask_b32_e64 v89, v244, v70, s21
	;; [unrolled: 1-line block ×3, first 2 shown]
	s_delay_alu instid0(VALU_DEP_4)
	v_div_fmas_f64 v[82:83], v[82:83], v[84:85], v[86:87]
	v_cndmask_b32_e64 v85, v247, v69, s20
	v_cndmask_b32_e64 v86, v249, v69, s21
	;; [unrolled: 1-line block ×8, first 2 shown]
	s_waitcnt vmcnt(0)
	v_cmp_eq_u32_e32 vcc_lo, 3, v14
	v_cndmask_b32_e64 v103, v69, v87, s18
	v_cndmask_b32_e64 v69, v70, v90, s16
	;; [unrolled: 1-line block ×7, first 2 shown]
	s_delay_alu instid0(VALU_DEP_4) | instskip(NEXT) | instid1(VALU_DEP_4)
	v_cndmask_b32_e64 v16, v16, v32, s17
	v_cndmask_b32_e64 v70, v70, v52, s17
	s_delay_alu instid0(VALU_DEP_3) | instskip(NEXT) | instid1(VALU_DEP_3)
	v_cndmask_b32_e64 v69, v69, v53, s15
	v_cndmask_b32_e64 v16, v16, v31, s15
	s_delay_alu instid0(VALU_DEP_3) | instskip(NEXT) | instid1(VALU_DEP_3)
	;; [unrolled: 3-line block ×5, first 2 shown]
	v_cndmask_b32_e64 v70, v70, v22, s11
	v_cndmask_b32_e64 v69, v69, v27, s9
	v_div_fixup_f64 v[78:79], v[82:83], v[80:81], v[78:79]
	v_cndmask_b32_e64 v80, v126, v72, s14
	v_cndmask_b32_e64 v81, v127, v73, s14
	;; [unrolled: 1-line block ×28, first 2 shown]
	s_delay_alu instid0(VALU_DEP_4) | instskip(NEXT) | instid1(VALU_DEP_4)
	v_cndmask_b32_e64 v73, v73, v42, s11
	v_cndmask_b32_e64 v82, v82, v34, s11
	s_delay_alu instid0(VALU_DEP_2) | instskip(NEXT) | instid1(VALU_DEP_2)
	v_cndmask_b32_e64 v70, v73, v43, s9
	v_cndmask_b32_e64 v73, v82, v35, s9
	;; [unrolled: 1-line block ×3, first 2 shown]
	v_add_f64 v[6:7], -v[78:79], 1.0
	v_cndmask_b32_e64 v83, v101, v29, s4
	v_cndmask_b32_e64 v71, v70, v44, s8
	;; [unrolled: 1-line block ×16, first 2 shown]
	v_cmp_eq_u32_e64 s4, 1, v14
	s_delay_alu instid0(VALU_DEP_4) | instskip(SKIP_1) | instid1(VALU_DEP_1)
	v_cndmask_b32_e64 v73, v82, v20, s6
	v_cndmask_b32_e64 v82, v103, v33, s3
	;; [unrolled: 1-line block ×3, first 2 shown]
	v_mul_f64 v[16:17], v[16:17], v[6:7]
	v_mul_f64 v[68:69], v[68:69], v[6:7]
	;; [unrolled: 1-line block ×4, first 2 shown]
	v_cndmask_b32_e64 v74, v72, v22, s2
	v_cndmask_b32_e64 v72, v83, v8, s6
	;; [unrolled: 1-line block ×4, first 2 shown]
	v_cmp_eq_u32_e64 s3, 2, v14
	v_cndmask_b32_e64 v74, v74, v23, s5
	s_delay_alu instid0(VALU_DEP_4) | instskip(SKIP_2) | instid1(VALU_DEP_4)
	v_cndmask_b32_e64 v75, v75, v42, s2
	v_cmp_eq_u32_e64 s2, 4, v14
	v_fma_f64 v[72:73], v[72:73], v[78:79], v[16:17]
	v_cndmask_b32_e64 v16, v74, v24, s6
	s_delay_alu instid0(VALU_DEP_4)
	v_cndmask_b32_e64 v74, v75, v43, s5
	v_cndmask_b32_e64 v75, v82, v35, s5
	v_cmp_eq_u32_e64 s5, 0, v14
	v_cndmask_b32_e32 v111, v32, v73, vcc_lo
	v_cndmask_b32_e64 v17, v83, v28, s6
	v_cndmask_b32_e64 v83, v31, v73, s2
	;; [unrolled: 1-line block ×5, first 2 shown]
	v_fma_f64 v[68:69], v[16:17], v[78:79], v[68:69]
	v_cndmask_b32_e64 v17, v74, v44, s6
	v_cndmask_b32_e64 v16, v75, v38, s6
	v_fma_f64 v[74:75], v[76:77], v[78:79], v[6:7]
	v_lshlrev_b32_e32 v4, 2, v14
	v_cndmask_b32_e32 v110, v30, v72, vcc_lo
	v_cndmask_b32_e64 v247, v85, v73, s4
	v_fma_f64 v[70:71], v[16:17], v[78:79], v[70:71]
	v_cndmask_b32_e64 v246, v66, v72, s4
	v_add3_u32 v4, 16, v4, 40
	v_cndmask_b32_e64 v249, v86, v73, s5
	v_cndmask_b32_e64 v248, v65, v72, s5
	v_add_nc_u32_e64 v76, 16, 40
	scratch_load_b32 v4, v4, off
	v_dual_cndmask_b32 v7, v54, v69 :: v_dual_cndmask_b32 v6, v52, v68
	v_cndmask_b32_e64 v203, v53, v69, s2
	v_cndmask_b32_e64 v202, v49, v68, s2
	;; [unrolled: 1-line block ×10, first 2 shown]
	v_cndmask_b32_e32 v117, v97, v71, vcc_lo
	v_cndmask_b32_e32 v116, v93, v70, vcc_lo
	v_cndmask_b32_e64 v229, v98, v71, s3
	v_cndmask_b32_e64 v228, v94, v70, s3
	;; [unrolled: 1-line block ×4, first 2 shown]
	v_dual_cndmask_b32 v183, v41, v75 :: v_dual_cndmask_b32 v182, v40, v74
	v_cndmask_b32_e64 v255, v64, v75, s3
	v_cndmask_b32_e64 v254, v63, v74, s3
	;; [unrolled: 1-line block ×10, first 2 shown]
	s_waitcnt vmcnt(0)
	s_clause 0x8
	scratch_store_b32 off, v4, off offset:100
	scratch_store_b128 off, v[0:3], off offset:880
	scratch_store_b128 off, v[4:7], off offset:896
	;; [unrolled: 1-line block ×8, first 2 shown]
	v_mov_b32_e32 v29, v115
	v_cmp_eq_u32_e64 s2, 8, v14
	v_cmp_eq_u32_e32 vcc_lo, 7, v14
	v_cmp_eq_u32_e64 s3, 6, v14
	v_cmp_eq_u32_e64 s4, 5, v14
	s_delay_alu instid0(VALU_DEP_4)
	v_cndmask_b32_e64 v17, v20, v73, s2
	s_clause 0x7
	scratch_store_b128 off, v[0:3], off offset:3696
	scratch_store_b128 off, v[4:7], off offset:3712
	;; [unrolled: 1-line block ×8, first 2 shown]
	v_cndmask_b32_e64 v80, v42, v71, s3
	v_cndmask_b32_e64 v154, v45, v74, s4
	;; [unrolled: 1-line block ×3, first 2 shown]
	s_clause 0x7
	scratch_store_b128 off, v[0:3], off offset:3824
	scratch_store_b128 off, v[4:7], off offset:3840
	;; [unrolled: 1-line block ×8, first 2 shown]
	v_cndmask_b32_e32 v16, v19, v73, vcc_lo
	s_clause 0x7
	scratch_store_b128 off, v[1:4], off offset:2160
	scratch_store_b128 off, v[5:8], off offset:2176
	;; [unrolled: 1-line block ×8, first 2 shown]
	v_cndmask_b32_e32 v16, v9, v72, vcc_lo
	s_clause 0x7
	scratch_store_b128 off, v[2:5], off offset:2800
	scratch_store_b128 off, v[6:9], off offset:2816
	scratch_store_b128 off, v[10:13], off offset:2832
	scratch_store_b128 off, v[14:17], off offset:2848
	scratch_store_b128 off, v[18:21], off offset:2864
	scratch_store_b128 off, v[22:25], off offset:2880
	scratch_store_b128 off, v[26:29], off offset:2896
	scratch_store_b128 off, v[30:33], off offset:2912
	v_cndmask_b32_e64 v16, v18, v73, s3
	s_clause 0x7
	scratch_store_b128 off, v[3:6], off offset:2288
	scratch_store_b128 off, v[7:10], off offset:2304
	scratch_store_b128 off, v[11:14], off offset:2320
	scratch_store_b128 off, v[15:18], off offset:2336
	scratch_store_b128 off, v[19:22], off offset:2352
	scratch_store_b128 off, v[23:26], off offset:2368
	scratch_store_b128 off, v[27:30], off offset:2384
	scratch_store_b128 off, v[31:34], off offset:2400
	v_cndmask_b32_e64 v16, v10, v72, s3
	;; [unrolled: 10-line block ×6, first 2 shown]
	s_clause 0x7
	scratch_store_b128 off, v[0:3], off offset:3184
	scratch_store_b128 off, v[4:7], off offset:3200
	scratch_store_b128 off, v[8:11], off offset:3216
	scratch_store_b128 off, v[12:15], off offset:3232
	scratch_store_b128 off, v[16:19], off offset:3248
	scratch_store_b128 off, v[20:23], off offset:3264
	scratch_store_b128 off, v[24:27], off offset:3280
	scratch_store_b128 off, v[28:31], off offset:3296
	v_cndmask_b32_e32 v15, v27, v69, vcc_lo
	s_clause 0x7
	scratch_store_b128 off, v[0:3], off offset:3056
	scratch_store_b128 off, v[4:7], off offset:3072
	scratch_store_b128 off, v[8:11], off offset:3088
	scratch_store_b128 off, v[12:15], off offset:3104
	scratch_store_b128 off, v[16:19], off offset:3120
	scratch_store_b128 off, v[20:23], off offset:3136
	scratch_store_b128 off, v[24:27], off offset:3152
	scratch_store_b128 off, v[28:31], off offset:3168
	v_cndmask_b32_e32 v15, v23, v68, vcc_lo
	s_clause 0x7
	scratch_store_b128 off, v[1:4], off offset:3312
	scratch_store_b128 off, v[5:8], off offset:3328
	scratch_store_b128 off, v[9:12], off offset:3344
	scratch_store_b128 off, v[13:16], off offset:3360
	scratch_store_b128 off, v[17:20], off offset:3376
	scratch_store_b128 off, v[21:24], off offset:3392
	scratch_store_b128 off, v[25:28], off offset:3408
	scratch_store_b128 off, v[29:32], off offset:3424
	v_cndmask_b32_e64 v13, v26, v69, s3
	s_clause 0x7
	scratch_store_b128 off, v[0:3], off offset:1136
	scratch_store_b128 off, v[4:7], off offset:1152
	scratch_store_b128 off, v[8:11], off offset:1168
	scratch_store_b128 off, v[12:15], off offset:1184
	scratch_store_b128 off, v[16:19], off offset:1200
	scratch_store_b128 off, v[20:23], off offset:1216
	scratch_store_b128 off, v[24:27], off offset:1232
	scratch_store_b128 off, v[28:31], off offset:1248
	v_cndmask_b32_e64 v13, v22, v68, s3
	;; [unrolled: 10-line block ×6, first 2 shown]
	s_clause 0x7
	scratch_store_b128 off, v[0:3], off offset:1648
	scratch_store_b128 off, v[4:7], off offset:1664
	scratch_store_b128 off, v[8:11], off offset:1680
	scratch_store_b128 off, v[12:15], off offset:1696
	scratch_store_b128 off, v[16:19], off offset:1712
	scratch_store_b128 off, v[20:23], off offset:1728
	scratch_store_b128 off, v[24:27], off offset:1744
	scratch_store_b128 off, v[28:31], off offset:1760
	v_cndmask_b32_e32 v15, v43, v71, vcc_lo
	v_cndmask_b32_e64 v101, v58, v75, s2
	s_clause 0x7
	scratch_store_b128 off, v[0:3], off offset:1520
	scratch_store_b128 off, v[4:7], off offset:1536
	scratch_store_b128 off, v[8:11], off offset:1552
	scratch_store_b128 off, v[12:15], off offset:1568
	scratch_store_b128 off, v[16:19], off offset:1584
	scratch_store_b128 off, v[20:23], off offset:1600
	scratch_store_b128 off, v[24:27], off offset:1616
	scratch_store_b128 off, v[28:31], off offset:1632
	v_cndmask_b32_e32 v15, v35, v70, vcc_lo
	s_clause 0x7
	scratch_store_b128 off, v[1:4], off offset:1776
	scratch_store_b128 off, v[5:8], off offset:1792
	scratch_store_b128 off, v[9:12], off offset:1808
	scratch_store_b128 off, v[13:16], off offset:1824
	scratch_store_b128 off, v[17:20], off offset:1840
	scratch_store_b128 off, v[21:24], off offset:1856
	scratch_store_b128 off, v[25:28], off offset:1872
	scratch_store_b128 off, v[29:32], off offset:1888
	v_cndmask_b32_e64 v13, v34, v70, s3
	s_clause 0x7
	scratch_store_b128 off, v[1:4], off offset:1904
	scratch_store_b128 off, v[5:8], off offset:1920
	scratch_store_b128 off, v[9:12], off offset:1936
	scratch_store_b128 off, v[13:16], off offset:1952
	scratch_store_b128 off, v[17:20], off offset:1968
	scratch_store_b128 off, v[21:24], off offset:1984
	scratch_store_b128 off, v[25:28], off offset:2000
	scratch_store_b128 off, v[29:32], off offset:2016
	v_cndmask_b32_e64 v13, v39, v71, s4
	;; [unrolled: 10-line block ×4, first 2 shown]
	s_clause 0x7
	scratch_store_b128 off, v[0:3], off offset:496
	scratch_store_b128 off, v[4:7], off offset:512
	;; [unrolled: 1-line block ×8, first 2 shown]
	v_cndmask_b32_e32 v15, v57, v75, vcc_lo
	s_clause 0x7
	scratch_store_b128 off, v[0:3], off offset:112
	scratch_store_b128 off, v[4:7], off offset:128
	scratch_store_b128 off, v[8:11], off offset:144
	scratch_store_b128 off, v[12:15], off offset:160
	scratch_store_b128 off, v[16:19], off offset:176
	scratch_store_b128 off, v[20:23], off offset:192
	scratch_store_b128 off, v[24:27], off offset:208
	scratch_store_b128 off, v[28:31], off offset:224
	v_cndmask_b32_e32 v15, v47, v74, vcc_lo
	s_clause 0x7
	scratch_store_b128 off, v[1:4], off offset:624
	scratch_store_b128 off, v[5:8], off offset:640
	scratch_store_b128 off, v[9:12], off offset:656
	scratch_store_b128 off, v[13:16], off offset:672
	scratch_store_b128 off, v[17:20], off offset:688
	scratch_store_b128 off, v[21:24], off offset:704
	scratch_store_b128 off, v[25:28], off offset:720
	scratch_store_b128 off, v[29:32], off offset:736
	v_cndmask_b32_e64 v13, v56, v75, s3
	s_clause 0x7
	scratch_store_b128 off, v[0:3], off offset:240
	scratch_store_b128 off, v[4:7], off offset:256
	scratch_store_b128 off, v[8:11], off offset:272
	scratch_store_b128 off, v[12:15], off offset:288
	scratch_store_b128 off, v[16:19], off offset:304
	scratch_store_b128 off, v[20:23], off offset:320
	scratch_store_b128 off, v[24:27], off offset:336
	scratch_store_b128 off, v[28:31], off offset:352
	v_cndmask_b32_e64 v13, v46, v74, s3
	;; [unrolled: 10-line block ×3, first 2 shown]
	s_clause 0x7
	scratch_store_b128 off, v[2:5], off offset:368
	scratch_store_b128 off, v[6:9], off offset:384
	;; [unrolled: 1-line block ×8, first 2 shown]
.LBB2_80:
	s_or_b32 exec_lo, exec_lo, s26
	s_mov_b32 s2, 0
	scratch_store_b32 off, v119, off offset:96
	s_mov_b32 s4, exec_lo
	s_clause 0x7
	scratch_load_b128 v[30:33], off, off offset:1136
	scratch_load_b128 v[34:37], off, off offset:1152
	;; [unrolled: 1-line block ×8, first 2 shown]
	s_and_b32 s3, s4, s0
	s_waitcnt vmcnt(4)
	v_mov_b32_e32 v90, v43
	s_mov_b32 exec_lo, s3
	s_cbranch_execz .LBB2_90
; %bb.81:
	v_cmp_gt_f64_e32 vcc_lo, 0, v[112:113]
	v_mov_b32_e32 v2, v114
	s_mov_b32 s5, 0
	s_branch .LBB2_83
.LBB2_82:                               ;   in Loop: Header=BB2_83 Depth=1
	s_or_b32 exec_lo, exec_lo, s2
	s_waitcnt vmcnt(0)
	v_cmp_gt_i32_e64 s2, 0, v3
	v_mov_b32_e32 v2, v3
	s_delay_alu instid0(VALU_DEP_2) | instskip(NEXT) | instid1(SALU_CYCLE_1)
	s_or_b32 s5, s2, s5
	s_and_not1_b32 exec_lo, exec_lo, s5
	s_cbranch_execz .LBB2_89
.LBB2_83:                               ; =>This Inner Loop Header: Depth=1
	s_clause 0x7
	scratch_load_b128 v[30:33], off, off offset:368
	scratch_load_b128 v[34:37], off, off offset:384
	;; [unrolled: 1-line block ×8, first 2 shown]
	v_cmp_eq_u32_e64 s2, 1, v2
	v_cmp_eq_u32_e64 s3, 2, v2
	s_delay_alu instid0(VALU_DEP_2) | instskip(SKIP_2) | instid1(VALU_DEP_3)
	v_cndmask_b32_e64 v3, v237, v235, s2
	v_cndmask_b32_e64 v4, v236, v234, s2
	v_cmp_eq_u32_e64 s2, 3, v2
	v_cndmask_b32_e64 v3, v3, v255, s3
	s_delay_alu instid0(VALU_DEP_3) | instskip(SKIP_1) | instid1(VALU_DEP_2)
	v_cndmask_b32_e64 v4, v4, v254, s3
	s_mov_b32 s3, 0
	v_cndmask_b32_e64 v3, v3, v183, s2
	s_delay_alu instid0(VALU_DEP_2) | instskip(SKIP_1) | instid1(VALU_DEP_1)
	v_cndmask_b32_e64 v4, v4, v182, s2
	v_cmp_eq_u32_e64 s2, 4, v2
	v_cndmask_b32_e64 v3, v3, v193, s2
	s_delay_alu instid0(VALU_DEP_3) | instskip(SKIP_1) | instid1(VALU_DEP_1)
	v_cndmask_b32_e64 v4, v4, v192, s2
	v_cmp_eq_u32_e64 s2, 5, v2
	v_cndmask_b32_e64 v4, v4, v154, s2
	s_waitcnt vmcnt(5)
	v_cndmask_b32_e64 v3, v3, v41, s2
	s_clause 0x7
	scratch_load_b128 v[30:33], off, off offset:240
	scratch_load_b128 v[34:37], off, off offset:256
	;; [unrolled: 1-line block ×8, first 2 shown]
	v_cmp_eq_u32_e64 s2, 6, v2
	s_waitcnt vmcnt(4)
	s_delay_alu instid0(VALU_DEP_1)
	v_cndmask_b32_e64 v3, v3, v43, s2
	s_clause 0x7
	scratch_load_b128 v[30:33], off, off offset:752
	scratch_load_b128 v[34:37], off, off offset:768
	;; [unrolled: 1-line block ×8, first 2 shown]
	s_waitcnt vmcnt(4)
	v_cndmask_b32_e64 v4, v4, v42, s2
	s_clause 0x7
	scratch_load_b128 v[30:33], off, off offset:112
	scratch_load_b128 v[34:37], off, off offset:128
	;; [unrolled: 1-line block ×8, first 2 shown]
	v_cmp_eq_u32_e64 s2, 7, v2
	s_waitcnt vmcnt(4)
	s_delay_alu instid0(VALU_DEP_1)
	v_cndmask_b32_e64 v3, v3, v45, s2
	s_clause 0x7
	scratch_load_b128 v[30:33], off, off offset:624
	scratch_load_b128 v[34:37], off, off offset:640
	;; [unrolled: 1-line block ×8, first 2 shown]
	s_waitcnt vmcnt(4)
	v_cndmask_b32_e64 v5, v4, v44, s2
	s_clause 0x7
	scratch_load_b128 v[30:33], off, off offset:496
	scratch_load_b128 v[34:37], off, off offset:512
	;; [unrolled: 1-line block ×8, first 2 shown]
	v_cmp_eq_u32_e64 s2, 8, v2
	s_delay_alu instid0(VALU_DEP_1) | instskip(SKIP_3) | instid1(VALU_DEP_2)
	v_cndmask_b32_e64 v4, v3, v101, s2
	s_waitcnt vmcnt(3)
	v_cndmask_b32_e64 v3, v5, v46, s2
	v_lshl_add_u32 v5, v2, 2, v76
	v_cmp_ngt_f64_e64 s2, 0, v[3:4]
	scratch_load_b32 v3, v5, off
                                        ; implicit-def: $vgpr4
	s_and_saveexec_b32 s6, s2
	s_delay_alu instid0(SALU_CYCLE_1)
	s_xor_b32 s6, exec_lo, s6
	s_cbranch_execnz .LBB2_86
; %bb.84:                               ;   in Loop: Header=BB2_83 Depth=1
	s_and_not1_saveexec_b32 s2, s6
	s_cbranch_execnz .LBB2_87
.LBB2_85:                               ;   in Loop: Header=BB2_83 Depth=1
	s_or_b32 exec_lo, exec_lo, s2
	s_and_saveexec_b32 s2, s3
	s_cbranch_execz .LBB2_82
	s_branch .LBB2_88
.LBB2_86:                               ;   in Loop: Header=BB2_83 Depth=1
	scratch_load_b32 v4, off, off offset:96
                                        ; implicit-def: $vgpr5
	s_waitcnt vmcnt(0)
	v_cmp_eq_u32_e64 s2, -1, v4
	v_mov_b32_e32 v4, 0x60
	s_delay_alu instid0(VALU_DEP_2)
	s_and_b32 s3, s2, exec_lo
	s_and_not1_saveexec_b32 s2, s6
	s_cbranch_execz .LBB2_85
.LBB2_87:                               ;   in Loop: Header=BB2_83 Depth=1
	scratch_load_b32 v8, off, off offset:100
	v_mov_b32_e32 v4, 0x64
	s_or_b32 s3, s3, exec_lo
	s_waitcnt vmcnt(0)
	scratch_store_b32 v5, v8, off
	s_or_b32 exec_lo, exec_lo, s2
	s_and_saveexec_b32 s2, s3
	s_cbranch_execz .LBB2_82
.LBB2_88:                               ;   in Loop: Header=BB2_83 Depth=1
	scratch_store_b32 v4, v2, off
	s_branch .LBB2_82
.LBB2_89:
	s_or_b32 exec_lo, exec_lo, s5
	s_delay_alu instid0(SALU_CYCLE_1)
	s_and_b32 s2, vcc_lo, exec_lo
.LBB2_90:
	s_or_b32 exec_lo, exec_lo, s4
	s_and_saveexec_b32 s3, s1
; %bb.91:
	v_cmp_gt_f64_e32 vcc_lo, 0, v[105:106]
	v_lshlrev_b32_e32 v2, 2, v107
	v_lshlrev_b32_e32 v1, 2, v29
	;; [unrolled: 1-line block ×3, first 2 shown]
	s_delay_alu instid0(VALU_DEP_3) | instskip(NEXT) | instid1(VALU_DEP_3)
	v_add3_u32 v2, 16, v2, 40
	v_add3_u32 v1, 16, v1, 40
	s_delay_alu instid0(VALU_DEP_3) | instskip(SKIP_1) | instid1(SALU_CYCLE_1)
	v_add3_u32 v0, 16, v0, 40
	s_or_b32 s1, vcc_lo, s2
	v_cndmask_b32_e64 v3, v118, -1, s1
	s_clause 0x2
	scratch_store_b32 v2, v29, off
	scratch_store_b32 v1, v14, off
	;; [unrolled: 1-line block ×3, first 2 shown]
; %bb.92:
	s_or_b32 exec_lo, exec_lo, s3
	scratch_load_b32 v12, off, off offset:96
	v_mov_b32_e32 v112, 0
	v_mov_b32_e32 v113, 0
	s_delay_alu instid0(VALU_DEP_1)
	v_dual_mov_b32 v125, v113 :: v_dual_mov_b32 v124, v112
	v_dual_mov_b32 v123, v113 :: v_dual_mov_b32 v122, v112
	;; [unrolled: 1-line block ×4, first 2 shown]
	s_waitcnt vmcnt(0)
	v_cmp_lt_i32_e32 vcc_lo, -1, v12
	s_mov_b32 s8, exec_lo
	s_clause 0x7
	scratch_load_b128 v[13:16], off, off offset:1264
	scratch_load_b128 v[17:20], off, off offset:1280
	;; [unrolled: 1-line block ×8, first 2 shown]
	s_and_b32 s1, s8, vcc_lo
	s_waitcnt vmcnt(5)
	v_mov_b32_e32 v91, v24
	s_mov_b32 exec_lo, s1
	s_cbranch_execz .LBB2_98
; %bb.93:
	v_lshlrev_b32_e32 v0, 2, v12
	v_mov_b32_e32 v118, 0
	v_mov_b32_e32 v119, 0
	s_mov_b32 s9, exec_lo
	s_delay_alu instid0(VALU_DEP_3) | instskip(NEXT) | instid1(VALU_DEP_2)
	v_add3_u32 v0, 16, v0, 40
	v_dual_mov_b32 v121, v119 :: v_dual_mov_b32 v120, v118
	v_mov_b32_e32 v123, v119
	scratch_load_b32 v81, v0, off
	v_dual_mov_b32 v122, v118 :: v_dual_mov_b32 v125, v119
	v_mov_b32_e32 v124, v118
	s_waitcnt vmcnt(0)
	v_lshlrev_b32_e32 v0, 2, v81
	s_delay_alu instid0(VALU_DEP_1)
	v_add3_u32 v0, 16, v0, 40
	scratch_load_b32 v77, v0, off
	s_waitcnt vmcnt(0)
	v_cmpx_lt_i32_e32 -1, v77
	s_cbranch_execz .LBB2_97
; %bb.94:
	s_clause 0x7
	scratch_load_b128 v[13:16], off, off offset:2416
	scratch_load_b128 v[17:20], off, off offset:2432
	;; [unrolled: 1-line block ×8, first 2 shown]
	v_mov_b32_e32 v84, v110
	v_cmp_eq_u32_e32 vcc_lo, 1, v12
	v_cmp_eq_u32_e64 s1, 2, v12
	v_cmp_eq_u32_e64 s2, 3, v12
	;; [unrolled: 1-line block ×7, first 2 shown]
	v_dual_cndmask_b32 v0, v249, v247 :: v_dual_mov_b32 v85, v111
	v_dual_mov_b32 v68, v108 :: v_dual_mov_b32 v69, v109
	v_mov_b32_e32 v124, 0
	s_mov_b32 s10, 0
	v_mov_b32_e32 v125, 0
	s_delay_alu instid0(VALU_DEP_2) | instskip(SKIP_2) | instid1(VALU_DEP_4)
	v_mov_b32_e32 v122, v124
	v_cndmask_b32_e64 v0, v0, v69, s1
	v_mov_b32_e32 v120, v124
	v_dual_mov_b32 v118, v124 :: v_dual_mov_b32 v119, v125
	v_mov_b32_e32 v123, v125
	s_delay_alu instid0(VALU_DEP_4) | instskip(SKIP_1) | instid1(VALU_DEP_2)
	v_cndmask_b32_e64 v0, v0, v85, s2
	v_mov_b32_e32 v121, v125
	v_cndmask_b32_e64 v0, v0, v83, s3
	s_waitcnt vmcnt(5)
	v_mov_b32_e32 v99, v24
	s_clause 0x7
	scratch_load_b128 v[13:16], off, off offset:2288
	scratch_load_b128 v[17:20], off, off offset:2304
	;; [unrolled: 1-line block ×8, first 2 shown]
	v_cndmask_b32_e64 v0, v0, v99, s4
	s_waitcnt vmcnt(4)
	v_mov_b32_e32 v98, v26
	s_clause 0x7
	scratch_load_b128 v[13:16], off, off offset:2160
	scratch_load_b128 v[17:20], off, off offset:2176
	;; [unrolled: 1-line block ×8, first 2 shown]
	s_waitcnt vmcnt(4)
	v_mov_b32_e32 v97, v28
	s_clause 0x7
	scratch_load_b128 v[2:5], off, off offset:2544
	scratch_load_b128 v[6:9], off, off offset:2560
	;; [unrolled: 1-line block ×8, first 2 shown]
	v_cndmask_b32_e64 v0, v0, v98, s5
	s_delay_alu instid0(VALU_DEP_1)
	v_cndmask_b32_e64 v0, v0, v97, s6
	s_waitcnt vmcnt(5)
	v_mov_b32_e32 v100, v12
	s_clause 0x7
	scratch_load_b128 v[2:5], off, off offset:2672
	scratch_load_b128 v[6:9], off, off offset:2688
	;; [unrolled: 1-line block ×8, first 2 shown]
	s_waitcnt vmcnt(4)
	v_dual_cndmask_b32 v1, v248, v246 :: v_dual_mov_b32 v102, v14
	s_clause 0x7
	scratch_load_b128 v[2:5], off, off offset:2800
	scratch_load_b128 v[6:9], off, off offset:2816
	;; [unrolled: 1-line block ×8, first 2 shown]
	v_cndmask_b32_e64 v1, v1, v68, s1
	s_delay_alu instid0(VALU_DEP_1) | instskip(NEXT) | instid1(VALU_DEP_1)
	v_cndmask_b32_e64 v1, v1, v84, s2
	v_cndmask_b32_e64 v1, v1, v82, s3
	s_waitcnt vmcnt(4)
	v_mov_b32_e32 v103, v16
	s_clause 0x7
	scratch_load_b128 v[2:5], off, off offset:3696
	scratch_load_b128 v[6:9], off, off offset:3712
	;; [unrolled: 1-line block ×8, first 2 shown]
	s_waitcnt vmcnt(3)
	v_mov_b32_e32 v96, v19
	s_clause 0x7
	scratch_load_b128 v[2:5], off, off offset:3824
	scratch_load_b128 v[6:9], off, off offset:3840
	;; [unrolled: 1-line block ×8, first 2 shown]
	s_waitcnt vmcnt(6)
	v_dual_mov_b32 v8, v202 :: v_dual_mov_b32 v9, v203
	s_clause 0x7
	scratch_load_b128 v[194:197], off, off offset:880
	scratch_load_b128 v[198:201], off, off offset:896
	;; [unrolled: 1-line block ×8, first 2 shown]
	v_cndmask_b32_e64 v73, v0, v96, s7
	v_cndmask_b32_e64 v1, v1, v100, s4
	s_delay_alu instid0(VALU_DEP_1) | instskip(NEXT) | instid1(VALU_DEP_1)
	v_cndmask_b32_e64 v1, v1, v102, s5
	v_cndmask_b32_e64 v1, v1, v103, s6
	s_waitcnt vmcnt(11)
	v_mov_b32_e32 v104, v18
	s_waitcnt vmcnt(6)
	v_dual_mov_b32 v70, v200 :: v_dual_mov_b32 v71, v201
	s_waitcnt vmcnt(5)
	v_dual_mov_b32 v203, v9 :: v_dual_mov_b32 v202, v8
	s_clause 0x7
	scratch_load_b128 v[2:5], off, off offset:3568
	scratch_load_b128 v[6:9], off, off offset:3584
	;; [unrolled: 1-line block ×8, first 2 shown]
	v_cndmask_b32_e32 v0, v245, v241, vcc_lo
	v_cndmask_b32_e64 v72, v1, v104, s7
	v_cndmask_b32_e32 v1, v244, v240, vcc_lo
	s_delay_alu instid0(VALU_DEP_1) | instskip(NEXT) | instid1(VALU_DEP_1)
	v_cndmask_b32_e64 v1, v1, v250, s1
	v_cndmask_b32_e64 v1, v1, v70, s2
	s_waitcnt vmcnt(5)
	v_mov_b32_e32 v95, v12
	s_clause 0x7
	scratch_load_b128 v[2:5], off, off offset:3440
	scratch_load_b128 v[6:9], off, off offset:3456
	;; [unrolled: 1-line block ×8, first 2 shown]
	v_cndmask_b32_e64 v0, v0, v251, s1
	s_delay_alu instid0(VALU_DEP_1) | instskip(NEXT) | instid1(VALU_DEP_1)
	v_cndmask_b32_e64 v0, v0, v71, s2
	v_cndmask_b32_e64 v0, v0, v203, s3
	s_delay_alu instid0(VALU_DEP_1) | instskip(NEXT) | instid1(VALU_DEP_1)
	v_cndmask_b32_e64 v0, v0, v91, s4
	v_cndmask_b32_e64 v0, v0, v90, s5
	s_waitcnt vmcnt(4)
	v_mov_b32_e32 v94, v14
	s_clause 0x7
	scratch_load_b128 v[2:5], off, off offset:3056
	scratch_load_b128 v[6:9], off, off offset:3072
	;; [unrolled: 1-line block ×8, first 2 shown]
	s_waitcnt vmcnt(4)
	v_mov_b32_e32 v89, v17
	s_clause 0x7
	scratch_load_b128 v[2:5], off, off offset:3312
	scratch_load_b128 v[6:9], off, off offset:3328
	;; [unrolled: 1-line block ×8, first 2 shown]
	v_cndmask_b32_e64 v1, v1, v202, s3
	v_cndmask_b32_e64 v0, v0, v89, s6
	s_delay_alu instid0(VALU_DEP_2)
	v_cndmask_b32_e64 v1, v1, v95, s4
	s_waitcnt vmcnt(4)
	v_mov_b32_e32 v93, v16
	s_clause 0x7
	scratch_load_b128 v[2:5], off, off offset:2928
	scratch_load_b128 v[6:9], off, off offset:2944
	;; [unrolled: 1-line block ×8, first 2 shown]
	v_cndmask_b32_e64 v1, v1, v94, s5
	s_delay_alu instid0(VALU_DEP_1)
	v_cndmask_b32_e64 v1, v1, v93, s6
	s_waitcnt vmcnt(3)
	v_mov_b32_e32 v88, v19
	s_clause 0xf
	scratch_load_b128 v[2:5], off, off offset:3184
	scratch_load_b128 v[6:9], off, off offset:3200
	;; [unrolled: 1-line block ×16, first 2 shown]
	s_waitcnt vmcnt(5)
	v_dual_mov_b32 v92, v18 :: v_dual_mov_b32 v79, v44
	s_clause 0x7
	scratch_load_b128 v[2:5], off, off offset:2032
	scratch_load_b128 v[6:9], off, off offset:2048
	scratch_load_b128 v[10:13], off, off offset:2064
	scratch_load_b128 v[14:17], off, off offset:2080
	scratch_load_b128 v[18:21], off, off offset:2096
	scratch_load_b128 v[22:25], off, off offset:2112
	scratch_load_b128 v[26:29], off, off offset:2128
	scratch_load_b128 v[30:33], off, off offset:2144
	v_cndmask_b32_e64 v74, v1, v92, s7
	v_cndmask_b32_e32 v1, v252, v242, vcc_lo
	v_cndmask_b32_e64 v75, v0, v88, s7
	v_cndmask_b32_e32 v0, v253, v243, vcc_lo
	v_cmp_eq_u32_e32 vcc_lo, 1, v81
	s_delay_alu instid0(VALU_DEP_4) | instskip(NEXT) | instid1(VALU_DEP_1)
	v_cndmask_b32_e64 v1, v1, v228, s1
	v_cndmask_b32_e64 v1, v1, v116, s2
	s_delay_alu instid0(VALU_DEP_1)
	v_cndmask_b32_e64 v1, v1, v126, s3
	s_waitcnt vmcnt(5)
	v_mov_b32_e32 v87, v12
	s_clause 0xf
	scratch_load_b128 v[2:5], off, off offset:1904
	scratch_load_b128 v[6:9], off, off offset:1920
	;; [unrolled: 1-line block ×16, first 2 shown]
	v_mov_b32_e32 v78, v80
	v_cndmask_b32_e64 v0, v0, v229, s1
	v_cndmask_b32_e64 v1, v1, v87, s4
	v_cmp_eq_u32_e64 s1, 2, v81
	s_waitcnt vmcnt(2)
	v_mov_b32_e32 v58, v76
	v_cndmask_b32_e64 v0, v0, v117, s2
	v_cmp_eq_u32_e64 s2, 3, v81
	s_delay_alu instid0(VALU_DEP_2) | instskip(SKIP_1) | instid1(VALU_DEP_2)
	v_cndmask_b32_e64 v0, v0, v127, s3
	v_cmp_eq_u32_e64 s3, 4, v81
	v_cndmask_b32_e64 v0, v0, v79, s4
	v_cmp_eq_u32_e64 s4, 5, v81
	v_dual_mov_b32 v86, v14 :: v_dual_mov_b32 v59, v51
	s_clause 0x7
	scratch_load_b128 v[26:29], off, off offset:1776
	scratch_load_b128 v[30:33], off, off offset:1792
	;; [unrolled: 1-line block ×8, first 2 shown]
	v_cndmask_b32_e64 v0, v0, v78, s5
	v_cndmask_b32_e64 v1, v1, v86, s5
	v_cmp_eq_u32_e64 s5, 6, v81
	s_waitcnt vmcnt(9)
	s_delay_alu instid0(VALU_DEP_3)
	v_cndmask_b32_e64 v60, v0, v59, s6
	s_waitcnt vmcnt(4)
	v_cndmask_b32_e64 v34, v1, v40, s6
	s_clause 0x7
	scratch_load_b128 v[0:3], off, off offset:1392
	scratch_load_b128 v[4:7], off, off offset:1408
	;; [unrolled: 1-line block ×8, first 2 shown]
	v_cmp_eq_u32_e64 s6, 7, v81
	s_waitcnt vmcnt(3)
	v_mov_b32_e32 v36, v17
	s_clause 0x7
	scratch_load_b128 v[0:3], off, off offset:1648
	scratch_load_b128 v[4:7], off, off offset:1664
	;; [unrolled: 1-line block ×8, first 2 shown]
	s_waitcnt vmcnt(7)
	v_dual_cndmask_b32 v1, v244, v240 :: v_dual_cndmask_b32 v0, v245, v241
	v_cndmask_b32_e64 v38, v60, v36, s7
	s_delay_alu instid0(VALU_DEP_2) | instskip(NEXT) | instid1(VALU_DEP_1)
	v_cndmask_b32_e64 v1, v1, v250, s1
	v_cndmask_b32_e64 v1, v1, v70, s2
	s_delay_alu instid0(VALU_DEP_1) | instskip(NEXT) | instid1(VALU_DEP_1)
	v_cndmask_b32_e64 v1, v1, v202, s3
	v_cndmask_b32_e64 v1, v1, v95, s4
	s_delay_alu instid0(VALU_DEP_1) | instskip(NEXT) | instid1(VALU_DEP_1)
	v_cndmask_b32_e64 v1, v1, v94, s5
	v_cndmask_b32_e64 v1, v1, v93, s6
	s_waitcnt vmcnt(3)
	v_cndmask_b32_e64 v37, v34, v16, s7
	v_cmp_eq_u32_e64 s7, 8, v81
	s_waitcnt vmcnt(2)
	s_delay_alu instid0(VALU_DEP_2) | instskip(NEXT) | instid1(VALU_DEP_2)
	v_mul_f64 v[22:23], v[37:38], v[72:73]
	v_cndmask_b32_e64 v20, v1, v92, s7
	v_cndmask_b32_e32 v1, v248, v246, vcc_lo
	s_waitcnt vmcnt(1)
	v_mul_f64 v[24:25], v[37:38], v[74:75]
	v_mul_f64 v[26:27], v[37:38], v[37:38]
	s_delay_alu instid0(VALU_DEP_3) | instskip(NEXT) | instid1(VALU_DEP_1)
	v_cndmask_b32_e64 v1, v1, v68, s1
	v_cndmask_b32_e64 v1, v1, v84, s2
	s_delay_alu instid0(VALU_DEP_1) | instskip(NEXT) | instid1(VALU_DEP_1)
	v_cndmask_b32_e64 v1, v1, v82, s3
	v_cndmask_b32_e64 v1, v1, v100, s4
	s_delay_alu instid0(VALU_DEP_1) | instskip(NEXT) | instid1(VALU_DEP_1)
	v_cndmask_b32_e64 v1, v1, v102, s5
	v_cndmask_b32_e64 v1, v1, v103, s6
	s_waitcnt vmcnt(0)
	s_delay_alu instid0(VALU_DEP_1) | instskip(SKIP_2) | instid1(VALU_DEP_2)
	v_cndmask_b32_e64 v28, v1, v104, s7
	v_cndmask_b32_e32 v1, v252, v242, vcc_lo
	v_cndmask_b32_e64 v0, v0, v251, s1
	v_cndmask_b32_e64 v1, v1, v228, s1
	s_delay_alu instid0(VALU_DEP_2) | instskip(NEXT) | instid1(VALU_DEP_2)
	v_cndmask_b32_e64 v0, v0, v71, s2
	v_cndmask_b32_e64 v1, v1, v116, s2
	s_delay_alu instid0(VALU_DEP_2) | instskip(NEXT) | instid1(VALU_DEP_2)
	;; [unrolled: 3-line block ×5, first 2 shown]
	v_cndmask_b32_e64 v0, v0, v89, s6
	v_cndmask_b32_e64 v1, v1, v40, s6
	s_delay_alu instid0(VALU_DEP_2) | instskip(SKIP_1) | instid1(VALU_DEP_3)
	v_cndmask_b32_e64 v21, v0, v88, s7
	v_cndmask_b32_e32 v0, v249, v247, vcc_lo
	v_cndmask_b32_e64 v30, v1, v16, s7
	s_delay_alu instid0(VALU_DEP_3) | instskip(NEXT) | instid1(VALU_DEP_3)
	v_add_f64 v[34:35], v[20:21], -v[74:75]
	v_cndmask_b32_e64 v0, v0, v69, s1
	s_delay_alu instid0(VALU_DEP_1) | instskip(NEXT) | instid1(VALU_DEP_1)
	v_cndmask_b32_e64 v0, v0, v85, s2
	v_cndmask_b32_e64 v0, v0, v83, s3
	s_delay_alu instid0(VALU_DEP_1) | instskip(NEXT) | instid1(VALU_DEP_1)
	v_cndmask_b32_e64 v0, v0, v99, s4
	;; [unrolled: 3-line block ×3, first 2 shown]
	v_cndmask_b32_e64 v29, v0, v96, s7
	v_cndmask_b32_e32 v0, v253, v243, vcc_lo
	s_delay_alu instid0(VALU_DEP_2) | instskip(NEXT) | instid1(VALU_DEP_2)
	v_add_f64 v[32:33], v[28:29], -v[72:73]
	v_cndmask_b32_e64 v0, v0, v229, s1
	s_delay_alu instid0(VALU_DEP_1) | instskip(NEXT) | instid1(VALU_DEP_1)
	v_cndmask_b32_e64 v0, v0, v117, s2
	v_cndmask_b32_e64 v0, v0, v127, s3
	s_delay_alu instid0(VALU_DEP_1) | instskip(NEXT) | instid1(VALU_DEP_1)
	v_cndmask_b32_e64 v0, v0, v79, s4
	;; [unrolled: 3-line block ×3, first 2 shown]
	v_cndmask_b32_e64 v31, v0, v36, s7
.LBB2_95:                               ; =>This Inner Loop Header: Depth=1
	v_cmp_eq_u32_e32 vcc_lo, 1, v77
	v_cmp_eq_u32_e64 s1, 2, v77
	v_cmp_eq_u32_e64 s2, 3, v77
	;; [unrolled: 1-line block ×4, first 2 shown]
	v_dual_cndmask_b32 v39, v249, v247 :: v_dual_cndmask_b32 v42, v248, v246
	v_cmp_eq_u32_e64 s5, 6, v77
	v_cmp_eq_u32_e64 s6, 7, v77
	v_cmp_eq_u32_e64 s7, 8, v77
	s_delay_alu instid0(VALU_DEP_4)
	v_cndmask_b32_e64 v39, v39, v69, s1
	v_cndmask_b32_e64 v42, v42, v68, s1
	v_fma_f64 v[54:55], v[30:31], v[30:31], v[26:27]
	v_add_f64 v[56:57], v[37:38], v[30:31]
	v_cndmask_b32_e32 v44, v244, v240, vcc_lo
	v_cndmask_b32_e64 v39, v39, v85, s2
	v_cndmask_b32_e64 v42, v42, v84, s2
	s_delay_alu instid0(VALU_DEP_3) | instskip(NEXT) | instid1(VALU_DEP_3)
	v_cndmask_b32_e64 v44, v44, v250, s1
	v_cndmask_b32_e64 v39, v39, v83, s3
	s_delay_alu instid0(VALU_DEP_3) | instskip(NEXT) | instid1(VALU_DEP_3)
	;; [unrolled: 3-line block ×7, first 2 shown]
	v_cndmask_b32_e64 v44, v44, v94, s5
	v_cndmask_b32_e64 v43, v39, v96, s7
	s_delay_alu instid0(VALU_DEP_3) | instskip(SKIP_1) | instid1(VALU_DEP_4)
	v_cndmask_b32_e64 v42, v42, v104, s7
	v_cndmask_b32_e32 v39, v245, v241, vcc_lo
	v_cndmask_b32_e64 v44, v44, v93, s6
	s_delay_alu instid0(VALU_DEP_3) | instskip(NEXT) | instid1(VALU_DEP_3)
	v_add_f64 v[46:47], v[42:43], -v[72:73]
	v_cndmask_b32_e64 v39, v39, v251, s1
	s_delay_alu instid0(VALU_DEP_3) | instskip(NEXT) | instid1(VALU_DEP_2)
	v_cndmask_b32_e64 v44, v44, v92, s7
	v_cndmask_b32_e64 v39, v39, v71, s2
	s_delay_alu instid0(VALU_DEP_1) | instskip(NEXT) | instid1(VALU_DEP_1)
	v_cndmask_b32_e64 v39, v39, v203, s3
	v_cndmask_b32_e64 v39, v39, v91, s4
	s_delay_alu instid0(VALU_DEP_1) | instskip(NEXT) | instid1(VALU_DEP_1)
	;; [unrolled: 3-line block ×3, first 2 shown]
	v_cndmask_b32_e64 v45, v39, v88, s7
	v_add_f64 v[48:49], v[44:45], -v[74:75]
	v_mul_f64 v[34:35], v[46:47], v[34:35]
	s_delay_alu instid0(VALU_DEP_1) | instskip(SKIP_1) | instid1(VALU_DEP_1)
	v_fma_f64 v[32:33], v[48:49], v[32:33], -v[34:35]
	v_dual_cndmask_b32 v34, v253, v243 :: v_dual_cndmask_b32 v35, v252, v242
	v_cndmask_b32_e64 v34, v34, v229, s1
	s_delay_alu instid0(VALU_DEP_2) | instskip(NEXT) | instid1(VALU_DEP_2)
	v_cndmask_b32_e64 v35, v35, v228, s1
	v_cndmask_b32_e64 v34, v34, v117, s2
	s_delay_alu instid0(VALU_DEP_2) | instskip(NEXT) | instid1(VALU_DEP_2)
	v_cndmask_b32_e64 v35, v35, v116, s2
	;; [unrolled: 3-line block ×6, first 2 shown]
	v_cndmask_b32_e64 v53, v34, v36, s7
	s_delay_alu instid0(VALU_DEP_2) | instskip(SKIP_2) | instid1(VALU_DEP_3)
	v_cndmask_b32_e64 v52, v35, v16, s7
	v_add_f64 v[34:35], v[72:73], v[28:29]
	v_fma_f64 v[28:29], v[28:29], v[30:31], v[22:23]
	v_fma_f64 v[54:55], v[52:53], v[52:53], v[54:55]
	v_add_f64 v[56:57], v[52:53], v[56:57]
	s_delay_alu instid0(VALU_DEP_4) | instskip(NEXT) | instid1(VALU_DEP_4)
	v_add_f64 v[34:35], v[34:35], v[42:43]
	v_fma_f64 v[28:29], v[52:53], v[42:43], v[28:29]
	s_delay_alu instid0(VALU_DEP_4) | instskip(NEXT) | instid1(VALU_DEP_4)
	v_fma_f64 v[54:55], v[37:38], v[30:31], v[54:55]
	v_fma_f64 v[124:125], v[56:57], v[32:33], v[124:125]
	v_mul_f64 v[56:57], v[56:57], v[32:33]
	s_delay_alu instid0(VALU_DEP_3) | instskip(NEXT) | instid1(VALU_DEP_2)
	v_fma_f64 v[54:55], v[37:38], v[52:53], v[54:55]
	v_mul_f64 v[34:35], v[34:35], v[56:57]
	s_delay_alu instid0(VALU_DEP_2) | instskip(SKIP_2) | instid1(VALU_DEP_4)
	v_fma_f64 v[54:55], v[52:53], v[30:31], v[54:55]
	v_fma_f64 v[30:31], v[20:21], v[30:31], v[24:25]
	v_add_f64 v[20:21], v[74:75], v[20:21]
	v_fma_f64 v[28:29], v[28:29], v[32:33], v[34:35]
	v_dual_mov_b32 v34, v48 :: v_dual_mov_b32 v35, v49
	v_fma_f64 v[118:119], v[32:33], v[54:55], v[118:119]
	v_fma_f64 v[30:31], v[52:53], v[44:45], v[30:31]
	v_add_f64 v[20:21], v[44:45], v[20:21]
	v_add_f64 v[122:123], v[122:123], v[28:29]
	v_dual_mov_b32 v28, v42 :: v_dual_mov_b32 v29, v43
	s_delay_alu instid0(VALU_DEP_3) | instskip(NEXT) | instid1(VALU_DEP_1)
	v_mul_f64 v[20:21], v[20:21], v[56:57]
	v_fma_f64 v[20:21], v[30:31], v[32:33], v[20:21]
	v_dual_mov_b32 v32, v46 :: v_dual_mov_b32 v33, v47
	v_dual_mov_b32 v30, v52 :: v_dual_mov_b32 v31, v53
	s_delay_alu instid0(VALU_DEP_3)
	v_add_f64 v[120:121], v[120:121], v[20:21]
	v_lshl_add_u32 v20, v77, 2, v58
	scratch_load_b32 v77, v20, off
	v_dual_mov_b32 v20, v44 :: v_dual_mov_b32 v21, v45
	s_waitcnt vmcnt(0)
	v_cmp_gt_i32_e32 vcc_lo, 0, v77
	s_or_b32 s10, vcc_lo, s10
	s_delay_alu instid0(SALU_CYCLE_1)
	s_and_not1_b32 exec_lo, exec_lo, s10
	s_cbranch_execnz .LBB2_95
; %bb.96:
	s_or_b32 exec_lo, exec_lo, s10
.LBB2_97:
	s_delay_alu instid0(SALU_CYCLE_1)
	s_or_b32 exec_lo, exec_lo, s9
.LBB2_98:
	s_delay_alu instid0(SALU_CYCLE_1)
	s_or_b32 exec_lo, exec_lo, s8
	s_and_saveexec_b32 s9, s0
	s_cbranch_execz .LBB2_102
; %bb.99:
	s_clause 0x7
	scratch_load_b128 v[11:14], off, off offset:112
	scratch_load_b128 v[15:18], off, off offset:128
	;; [unrolled: 1-line block ×8, first 2 shown]
	s_mov_b32 s10, 0x4ad4b81f
	s_mov_b32 s11, 0xb58dee7a
	s_mov_b32 s12, 0
	s_waitcnt vmcnt(4)
	v_mov_b32_e32 v15, v26
	s_clause 0x7
	scratch_load_b128 v[16:19], off, off offset:240
	scratch_load_b128 v[20:23], off, off offset:256
	scratch_load_b128 v[24:27], off, off offset:272
	scratch_load_b128 v[28:31], off, off offset:288
	scratch_load_b128 v[32:35], off, off offset:304
	scratch_load_b128 v[36:39], off, off offset:320
	scratch_load_b128 v[40:43], off, off offset:336
	scratch_load_b128 v[44:47], off, off offset:352
	s_waitcnt vmcnt(4)
	v_mov_b32_e32 v14, v29
	s_clause 0x7
	scratch_load_b128 v[16:19], off, off offset:368
	scratch_load_b128 v[20:23], off, off offset:384
	scratch_load_b128 v[24:27], off, off offset:400
	scratch_load_b128 v[28:31], off, off offset:416
	scratch_load_b128 v[32:35], off, off offset:432
	scratch_load_b128 v[36:39], off, off offset:448
	scratch_load_b128 v[40:43], off, off offset:464
	scratch_load_b128 v[44:47], off, off offset:480
	;; [unrolled: 11-line block ×3, first 2 shown]
	s_waitcnt vmcnt(3)
	v_dual_mov_b32 v10, v114 :: v_dual_mov_b32 v17, v33
	s_clause 0x7
	scratch_load_b128 v[18:21], off, off offset:624
	scratch_load_b128 v[22:25], off, off offset:640
	;; [unrolled: 1-line block ×8, first 2 shown]
	s_waitcnt vmcnt(4)
	v_mov_b32_e32 v18, v32
	s_clause 0x7
	scratch_load_b128 v[19:22], off, off offset:752
	scratch_load_b128 v[23:26], off, off offset:768
	;; [unrolled: 1-line block ×8, first 2 shown]
	s_waitcnt vmcnt(4)
	v_mov_b32_e32 v19, v31
.LBB2_100:                              ; =>This Inner Loop Header: Depth=1
	v_cmp_eq_u32_e32 vcc_lo, 1, v10
	v_cmp_eq_u32_e64 s1, 2, v10
	v_cmp_eq_u32_e64 s2, 3, v10
	;; [unrolled: 1-line block ×8, first 2 shown]
	v_lshl_add_u32 v10, v10, 2, 16
	v_dual_cndmask_b32 v11, v237, v235 :: v_dual_cndmask_b32 v12, v236, v234
	scratch_load_b32 v10, v10, off
	v_cndmask_b32_e64 v11, v11, v255, s1
	v_cndmask_b32_e64 v12, v12, v254, s1
	s_delay_alu instid0(VALU_DEP_2) | instskip(NEXT) | instid1(VALU_DEP_2)
	v_cndmask_b32_e64 v11, v11, v183, s2
	v_cndmask_b32_e64 v12, v12, v182, s2
	s_delay_alu instid0(VALU_DEP_2) | instskip(NEXT) | instid1(VALU_DEP_2)
	v_cndmask_b32_e64 v11, v11, v193, s3
	v_cndmask_b32_e64 v12, v12, v192, s3
	s_delay_alu instid0(VALU_DEP_2) | instskip(NEXT) | instid1(VALU_DEP_2)
	v_cndmask_b32_e64 v11, v11, v16, s4
	v_cndmask_b32_e64 v12, v12, v154, s4
	s_delay_alu instid0(VALU_DEP_2) | instskip(NEXT) | instid1(VALU_DEP_2)
	v_cndmask_b32_e64 v11, v11, v14, s5
	v_cndmask_b32_e64 v12, v12, v19, s5
	s_delay_alu instid0(VALU_DEP_2) | instskip(NEXT) | instid1(VALU_DEP_2)
	v_cndmask_b32_e64 v11, v11, v15, s6
	v_cndmask_b32_e64 v13, v12, v18, s6
	s_delay_alu instid0(VALU_DEP_2) | instskip(NEXT) | instid1(VALU_DEP_2)
	v_cndmask_b32_e64 v12, v11, v101, s7
	v_cndmask_b32_e64 v11, v13, v17, s7
	s_delay_alu instid0(VALU_DEP_1) | instskip(NEXT) | instid1(VALU_DEP_1)
	v_add_f64 v[11:12], -v[11:12], s[10:11]
	v_dual_cndmask_b32 v235, v235, v12 :: v_dual_cndmask_b32 v234, v234, v11
	v_cndmask_b32_e64 v101, v101, v12, s7
	v_cndmask_b32_e64 v17, v17, v11, s7
	;; [unrolled: 1-line block ×16, first 2 shown]
	s_waitcnt vmcnt(0)
	v_cmp_gt_i32_e32 vcc_lo, 0, v10
	s_or_b32 s12, vcc_lo, s12
	s_delay_alu instid0(SALU_CYCLE_1)
	s_and_not1_b32 exec_lo, exec_lo, s12
	s_cbranch_execnz .LBB2_100
; %bb.101:
	s_or_b32 exec_lo, exec_lo, s12
	v_cmp_eq_u32_e32 vcc_lo, 1, v114
	v_cmp_eq_u32_e64 s1, 2, v114
	v_dual_cndmask_b32 v10, v237, v235 :: v_dual_cndmask_b32 v11, v236, v234
	v_cmp_eq_u32_e32 vcc_lo, 3, v114
	s_delay_alu instid0(VALU_DEP_2) | instskip(NEXT) | instid1(VALU_DEP_3)
	v_cndmask_b32_e64 v10, v10, v255, s1
	v_cndmask_b32_e64 v11, v11, v254, s1
	s_delay_alu instid0(VALU_DEP_1) | instskip(SKIP_1) | instid1(VALU_DEP_2)
	v_dual_cndmask_b32 v10, v10, v183 :: v_dual_cndmask_b32 v11, v11, v182
	v_cmp_eq_u32_e32 vcc_lo, 4, v114
	v_dual_cndmask_b32 v10, v10, v193 :: v_dual_cndmask_b32 v11, v11, v192
	v_cmp_eq_u32_e32 vcc_lo, 5, v114
	v_mov_b32_e32 v12, v16
	s_clause 0x7
	scratch_store_b128 off, v[1:4], off offset:368
	scratch_store_b128 off, v[5:8], off offset:384
	;; [unrolled: 1-line block ×8, first 2 shown]
	v_dual_cndmask_b32 v11, v11, v154 :: v_dual_cndmask_b32 v10, v10, v16
	v_mov_b32_e32 v13, v14
	s_clause 0x7
	scratch_store_b128 off, v[0:3], off offset:240
	scratch_store_b128 off, v[4:7], off offset:256
	;; [unrolled: 1-line block ×8, first 2 shown]
	v_cmp_eq_u32_e32 vcc_lo, 6, v114
	v_mov_b32_e32 v12, v19
	v_cndmask_b32_e32 v10, v10, v14, vcc_lo
	s_clause 0x7
	scratch_store_b128 off, v[0:3], off offset:752
	scratch_store_b128 off, v[4:7], off offset:768
	;; [unrolled: 1-line block ×8, first 2 shown]
	v_cndmask_b32_e32 v11, v11, v19, vcc_lo
	v_mov_b32_e32 v16, v15
	s_clause 0x7
	scratch_store_b128 off, v[1:4], off offset:112
	scratch_store_b128 off, v[5:8], off offset:128
	;; [unrolled: 1-line block ×8, first 2 shown]
	v_cmp_eq_u32_e32 vcc_lo, 7, v114
	v_cndmask_b32_e32 v10, v10, v15, vcc_lo
	v_mov_b32_e32 v14, v18
	s_clause 0x7
	scratch_store_b128 off, v[0:3], off offset:624
	scratch_store_b128 off, v[4:7], off offset:640
	scratch_store_b128 off, v[8:11], off offset:656
	scratch_store_b128 off, v[12:15], off offset:672
	scratch_store_b128 off, v[16:19], off offset:688
	scratch_store_b128 off, v[20:23], off offset:704
	scratch_store_b128 off, v[24:27], off offset:720
	scratch_store_b128 off, v[28:31], off offset:736
	v_cndmask_b32_e32 v12, v11, v18, vcc_lo
	v_cmp_eq_u32_e32 vcc_lo, 8, v114
	v_dual_mov_b32 v16, v17 :: v_dual_cndmask_b32 v113, v10, v101
	s_clause 0x7
	scratch_store_b128 off, v[0:3], off offset:496
	scratch_store_b128 off, v[4:7], off offset:512
	;; [unrolled: 1-line block ×8, first 2 shown]
	v_cndmask_b32_e32 v112, v12, v17, vcc_lo
.LBB2_102:
	s_or_b32 exec_lo, exec_lo, s9
	v_dual_mov_b32 v84, -1 :: v_dual_mov_b32 v129, v113
	v_dual_mov_b32 v85, -1 :: v_dual_mov_b32 v130, -1
	s_delay_alu instid0(VALU_DEP_3) | instskip(NEXT) | instid1(VALU_DEP_3)
	v_mov_b32_e32 v128, v112
	v_dual_mov_b32 v18, v84 :: v_dual_mov_b32 v131, -1
	s_delay_alu instid0(VALU_DEP_3)
	v_mov_b32_e32 v19, v85
	s_and_saveexec_b32 s5, s0
	s_cbranch_execz .LBB2_106
; %bb.103:
	s_clause 0x7
	scratch_load_b128 v[23:26], off, off offset:112
	scratch_load_b128 v[27:30], off, off offset:128
	;; [unrolled: 1-line block ×8, first 2 shown]
	v_dual_mov_b32 v22, v114 :: v_dual_mov_b32 v19, v112
	v_dual_mov_b32 v130, -1 :: v_dual_mov_b32 v131, -1
	s_mov_b32 s6, 0
	s_waitcnt vmcnt(4)
	v_mov_b32_e32 v16, v38
	s_clause 0x7
	scratch_load_b128 v[23:26], off, off offset:240
	scratch_load_b128 v[27:30], off, off offset:256
	;; [unrolled: 1-line block ×8, first 2 shown]
	s_waitcnt vmcnt(4)
	v_dual_mov_b32 v84, -1 :: v_dual_mov_b32 v17, v36
	s_clause 0x7
	scratch_load_b128 v[23:26], off, off offset:368
	scratch_load_b128 v[27:30], off, off offset:384
	;; [unrolled: 1-line block ×8, first 2 shown]
	s_waitcnt vmcnt(5)
	v_dual_mov_b32 v18, -1 :: v_dual_mov_b32 v11, v34
	s_clause 0x7
	scratch_load_b128 v[23:26], off, off offset:496
	scratch_load_b128 v[27:30], off, off offset:512
	;; [unrolled: 1-line block ×8, first 2 shown]
	s_waitcnt vmcnt(3)
	v_dual_mov_b32 v20, v113 :: v_dual_mov_b32 v27, v39
	s_clause 0x7
	scratch_load_b128 v[28:31], off, off offset:624
	scratch_load_b128 v[32:35], off, off offset:640
	;; [unrolled: 1-line block ×8, first 2 shown]
	s_waitcnt vmcnt(4)
	v_mov_b32_e32 v28, v42
	s_clause 0x7
	scratch_load_b128 v[29:32], off, off offset:752
	scratch_load_b128 v[33:36], off, off offset:768
	;; [unrolled: 1-line block ×8, first 2 shown]
	s_waitcnt vmcnt(4)
	v_mov_b32_e32 v29, v41
.LBB2_104:                              ; =>This Inner Loop Header: Depth=1
	v_lshl_add_u32 v12, v22, 2, 16
	v_dual_mov_b32 v129, v20 :: v_dual_mov_b32 v128, v19
	scratch_load_b32 v25, v12, off
	v_cmp_gt_f64_e64 s3, 0, v[128:129]
	s_waitcnt vmcnt(0)
	v_cmp_gt_i32_e32 vcc_lo, 0, v25
	v_cndmask_b32_e32 v26, v25, v114, vcc_lo
	s_delay_alu instid0(VALU_DEP_1) | instskip(SKIP_1) | instid1(VALU_DEP_2)
	v_cmp_eq_u32_e64 s1, 1, v26
	v_cmp_eq_u32_e64 s2, 2, v26
	v_cndmask_b32_e64 v12, v237, v235, s1
	v_cndmask_b32_e64 v13, v236, v234, s1
	v_cmp_eq_u32_e64 s1, 3, v26
	s_delay_alu instid0(VALU_DEP_3) | instskip(NEXT) | instid1(VALU_DEP_3)
	v_cndmask_b32_e64 v12, v12, v255, s2
	v_cndmask_b32_e64 v13, v13, v254, s2
	s_delay_alu instid0(VALU_DEP_2) | instskip(NEXT) | instid1(VALU_DEP_2)
	v_cndmask_b32_e64 v12, v12, v183, s1
	v_cndmask_b32_e64 v13, v13, v182, s1
	v_cmp_eq_u32_e64 s1, 4, v26
	s_delay_alu instid0(VALU_DEP_1) | instskip(NEXT) | instid1(VALU_DEP_3)
	v_cndmask_b32_e64 v12, v12, v193, s1
	v_cndmask_b32_e64 v13, v13, v192, s1
	v_cmp_eq_u32_e64 s1, 5, v26
	s_delay_alu instid0(VALU_DEP_1) | instskip(NEXT) | instid1(VALU_DEP_3)
	;; [unrolled: 4-line block ×5, first 2 shown]
	v_cndmask_b32_e64 v24, v12, v101, s1
	v_cndmask_b32_e64 v23, v13, v27, s1
	v_cmp_le_f64_e64 s1, 0, v[128:129]
	s_delay_alu instid0(VALU_DEP_2) | instskip(SKIP_2) | instid1(VALU_DEP_3)
	v_cmp_gt_f64_e64 s2, 0, v[23:24]
	v_cmp_le_f64_e64 s4, 0, v[23:24]
	v_dual_mov_b32 v19, v23 :: v_dual_mov_b32 v20, v24
	s_and_b32 s1, s1, s2
	s_delay_alu instid0(VALU_DEP_2)
	s_and_b32 s2, s3, s4
	v_cndmask_b32_e64 v130, v130, v22, s1
	v_cndmask_b32_e64 v84, v84, v22, s2
	v_mov_b32_e32 v22, v25
	v_cndmask_b32_e64 v18, v18, v26, s1
	v_cndmask_b32_e64 v131, v131, v26, s2
	s_or_b32 s6, vcc_lo, s6
	s_delay_alu instid0(SALU_CYCLE_1)
	s_and_not1_b32 exec_lo, exec_lo, s6
	s_cbranch_execnz .LBB2_104
; %bb.105:
	s_or_b32 exec_lo, exec_lo, s6
.LBB2_106:
	s_delay_alu instid0(SALU_CYCLE_1) | instskip(SKIP_4) | instid1(VALU_DEP_3)
	s_or_b32 exec_lo, exec_lo, s5
	v_cmp_lt_i32_e64 s1, -1, v130
	s_waitcnt vmcnt(2)
	v_mov_b32_e32 v35, -1
	v_mov_b32_e32 v47, -1
	s_and_saveexec_b32 s26, s1
	s_cbranch_execz .LBB2_108
; %bb.107:
	s_clause 0x7
	scratch_load_b128 v[22:25], off, off offset:368
	scratch_load_b128 v[26:29], off, off offset:384
	;; [unrolled: 1-line block ×8, first 2 shown]
	v_cmp_eq_u32_e64 s2, 1, v18
	v_cmp_eq_u32_e64 s3, 2, v18
	;; [unrolled: 1-line block ×5, first 2 shown]
	v_cndmask_b32_e64 v19, v237, v235, s2
	v_cmp_eq_u32_e64 s7, 6, v18
	v_cmp_eq_u32_e64 s9, 7, v18
	v_cmp_eq_u32_e64 s10, 8, v18
	v_cndmask_b32_e64 v18, v236, v234, s2
	v_cndmask_b32_e64 v19, v19, v255, s3
	v_cmp_eq_u32_e64 s11, 1, v130
	v_cmp_eq_u32_e64 s12, 2, v130
	v_cmp_eq_u32_e64 s13, 3, v130
	v_cndmask_b32_e64 v18, v18, v254, s3
	;; [unrolled: 5-line block ×4, first 2 shown]
	v_cmp_eq_u32_e64 s20, 7, v115
	v_cmp_eq_u32_e64 s22, 5, v115
	;; [unrolled: 1-line block ×4, first 2 shown]
	v_cndmask_b32_e64 v18, v18, v154, s6
	s_waitcnt vmcnt(5)
	v_mov_b32_e32 v85, v33
	s_clause 0x7
	scratch_load_b128 v[22:25], off, off offset:240
	scratch_load_b128 v[26:29], off, off offset:256
	scratch_load_b128 v[30:33], off, off offset:272
	scratch_load_b128 v[34:37], off, off offset:288
	scratch_load_b128 v[38:41], off, off offset:304
	scratch_load_b128 v[42:45], off, off offset:320
	scratch_load_b128 v[46:49], off, off offset:336
	scratch_load_b128 v[50:53], off, off offset:352
	s_waitcnt vmcnt(4)
	v_mov_b32_e32 v86, v35
	s_clause 0x7
	scratch_load_b128 v[26:29], off, off offset:112
	scratch_load_b128 v[30:33], off, off offset:128
	;; [unrolled: 1-line block ×8, first 2 shown]
	v_cndmask_b32_e64 v19, v19, v85, s6
	s_delay_alu instid0(VALU_DEP_1)
	v_cndmask_b32_e64 v19, v19, v86, s7
	s_waitcnt vmcnt(4)
	v_mov_b32_e32 v87, v41
	s_clause 0x7
	scratch_load_b128 v[22:25], off, off offset:752
	scratch_load_b128 v[26:29], off, off offset:768
	;; [unrolled: 1-line block ×8, first 2 shown]
	s_waitcnt vmcnt(4)
	v_mov_b32_e32 v81, v34
	s_clause 0x7
	scratch_load_b128 v[22:25], off, off offset:624
	scratch_load_b128 v[26:29], off, off offset:640
	;; [unrolled: 1-line block ×8, first 2 shown]
	v_cndmask_b32_e64 v18, v18, v81, s7
	s_waitcnt vmcnt(4)
	v_mov_b32_e32 v79, v36
	s_clause 0x7
	scratch_load_b128 v[34:37], off, off offset:496
	scratch_load_b128 v[38:41], off, off offset:512
	;; [unrolled: 1-line block ×8, first 2 shown]
	v_cndmask_b32_e64 v18, v18, v79, s9
	s_waitcnt vmcnt(3)
	v_mov_b32_e32 v88, v50
	v_cndmask_b32_e64 v19, v19, v87, s9
	s_delay_alu instid0(VALU_DEP_2) | instskip(NEXT) | instid1(VALU_DEP_2)
	v_cndmask_b32_e64 v77, v18, v88, s10
	v_cndmask_b32_e64 v78, v19, v101, s10
	;; [unrolled: 1-line block ×4, first 2 shown]
	s_delay_alu instid0(VALU_DEP_2) | instskip(NEXT) | instid1(VALU_DEP_2)
	v_cndmask_b32_e64 v18, v18, v255, s12
	v_cndmask_b32_e64 v19, v19, v254, s12
	s_delay_alu instid0(VALU_DEP_2) | instskip(NEXT) | instid1(VALU_DEP_2)
	v_cndmask_b32_e64 v18, v18, v183, s13
	v_cndmask_b32_e64 v19, v19, v182, s13
	;; [unrolled: 3-line block ×7, first 2 shown]
	v_add_f64 v[18:19], -v[77:78], 0
	s_delay_alu instid0(VALU_DEP_2) | instskip(NEXT) | instid1(VALU_DEP_1)
	v_add_f64 v[22:23], v[89:90], -v[77:78]
	v_div_scale_f64 v[24:25], null, v[22:23], v[22:23], v[18:19]
	s_delay_alu instid0(VALU_DEP_1) | instskip(SKIP_2) | instid1(VALU_DEP_1)
	v_rcp_f64_e32 v[26:27], v[24:25]
	s_waitcnt_depctr 0xfff
	v_fma_f64 v[28:29], -v[24:25], v[26:27], 1.0
	v_fma_f64 v[26:27], v[26:27], v[28:29], v[26:27]
	s_delay_alu instid0(VALU_DEP_1) | instskip(NEXT) | instid1(VALU_DEP_1)
	v_fma_f64 v[28:29], -v[24:25], v[26:27], 1.0
	v_fma_f64 v[26:27], v[26:27], v[28:29], v[26:27]
	v_div_scale_f64 v[28:29], vcc_lo, v[18:19], v[22:23], v[18:19]
	s_delay_alu instid0(VALU_DEP_1) | instskip(NEXT) | instid1(VALU_DEP_1)
	v_mul_f64 v[30:31], v[28:29], v[26:27]
	v_fma_f64 v[24:25], -v[24:25], v[30:31], v[28:29]
	s_delay_alu instid0(VALU_DEP_1) | instskip(SKIP_1) | instid1(VALU_DEP_2)
	v_div_fmas_f64 v[24:25], v[24:25], v[26:27], v[30:31]
	v_cmp_eq_u32_e32 vcc_lo, 4, v115
	v_div_fixup_f64 v[91:92], v[24:25], v[22:23], v[18:19]
	s_clause 0x7
	scratch_load_b128 v[20:23], off, off offset:2416
	scratch_load_b128 v[24:27], off, off offset:2432
	;; [unrolled: 1-line block ×8, first 2 shown]
	v_cndmask_b32_e64 v19, v248, v246, s11
	v_cndmask_b32_e64 v18, v249, v247, s11
	s_delay_alu instid0(VALU_DEP_2) | instskip(NEXT) | instid1(VALU_DEP_2)
	v_cndmask_b32_e64 v19, v19, v108, s12
	v_cndmask_b32_e64 v18, v18, v109, s12
	s_delay_alu instid0(VALU_DEP_2) | instskip(NEXT) | instid1(VALU_DEP_2)
	;; [unrolled: 3-line block ×3, first 2 shown]
	v_cndmask_b32_e64 v19, v19, v82, s14
	v_cndmask_b32_e64 v18, v18, v83, s14
	s_waitcnt vmcnt(5)
	v_mov_b32_e32 v73, v31
	s_clause 0xf
	scratch_load_b128 v[20:23], off, off offset:2544
	scratch_load_b128 v[24:27], off, off offset:2560
	;; [unrolled: 1-line block ×16, first 2 shown]
	s_waitcnt vmcnt(0)
	v_add_f64 v[66:67], -v[91:92], 1.0
	v_mov_b32_e32 v74, v30
	s_clause 0x7
	scratch_load_b128 v[20:23], off, off offset:2672
	scratch_load_b128 v[24:27], off, off offset:2688
	;; [unrolled: 1-line block ×8, first 2 shown]
	v_mov_b32_e32 v53, v52
	v_cndmask_b32_e64 v19, v19, v74, s15
	s_waitcnt vmcnt(4)
	v_mov_b32_e32 v55, v32
	s_delay_alu instid0(VALU_DEP_1)
	v_cndmask_b32_e64 v0, v19, v55, s16
	s_clause 0x7
	scratch_load_b128 v[19:22], off, off offset:2160
	scratch_load_b128 v[23:26], off, off offset:2176
	;; [unrolled: 1-line block ×8, first 2 shown]
	s_waitcnt vmcnt(4)
	v_mov_b32_e32 v54, v34
	s_clause 0x7
	scratch_load_b128 v[21:24], off, off offset:2800
	scratch_load_b128 v[25:28], off, off offset:2816
	;; [unrolled: 1-line block ×8, first 2 shown]
	v_cndmask_b32_e64 v18, v18, v73, s15
	s_waitcnt vmcnt(1)
	v_cndmask_b32_e64 v46, v252, v242, s11
	s_delay_alu instid0(VALU_DEP_2) | instskip(NEXT) | instid1(VALU_DEP_2)
	v_cndmask_b32_e64 v18, v18, v53, s16
	v_cndmask_b32_e64 v46, v46, v228, s12
	s_delay_alu instid0(VALU_DEP_2) | instskip(NEXT) | instid1(VALU_DEP_2)
	v_cndmask_b32_e64 v56, v18, v54, s17
	v_cndmask_b32_e64 v46, v46, v116, s13
	s_delay_alu instid0(VALU_DEP_1)
	v_cndmask_b32_e64 v46, v46, v126, s14
	v_cndmask_b32_e64 v33, v0, v35, s17
	s_clause 0x7
	scratch_load_b128 v[0:3], off, off offset:3696
	scratch_load_b128 v[4:7], off, off offset:3712
	;; [unrolled: 1-line block ×8, first 2 shown]
	s_waitcnt vmcnt(3)
	v_mov_b32_e32 v32, v17
	s_clause 0x7
	scratch_load_b128 v[0:3], off, off offset:3824
	scratch_load_b128 v[4:7], off, off offset:3840
	scratch_load_b128 v[8:11], off, off offset:3856
	scratch_load_b128 v[12:15], off, off offset:3872
	scratch_load_b128 v[16:19], off, off offset:3888
	scratch_load_b128 v[20:23], off, off offset:3904
	scratch_load_b128 v[24:27], off, off offset:3920
	scratch_load_b128 v[28:31], off, off offset:3936
	s_waitcnt vmcnt(2)
	v_cndmask_b32_e64 v20, v249, v247, s2
	v_cndmask_b32_e64 v22, v248, v246, s2
	s_waitcnt vmcnt(1)
	v_cndmask_b32_e64 v27, v245, v241, s2
	v_cndmask_b32_e64 v34, v56, v32, s18
	;; [unrolled: 3-line block ×3, first 2 shown]
	v_cndmask_b32_e64 v22, v22, v108, s3
	v_cndmask_b32_e64 v27, v27, v251, s3
	;; [unrolled: 1-line block ×6, first 2 shown]
	s_delay_alu instid0(VALU_DEP_4) | instskip(NEXT) | instid1(VALU_DEP_3)
	v_cndmask_b32_e64 v30, v30, v250, s12
	v_cndmask_b32_e64 v20, v20, v83, s5
	s_delay_alu instid0(VALU_DEP_3) | instskip(NEXT) | instid1(VALU_DEP_2)
	v_cndmask_b32_e64 v22, v22, v82, s5
	v_cndmask_b32_e64 v20, v20, v73, s6
	s_delay_alu instid0(VALU_DEP_2) | instskip(NEXT) | instid1(VALU_DEP_2)
	v_cndmask_b32_e64 v22, v22, v74, s6
	v_cndmask_b32_e64 v20, v20, v53, s7
	s_delay_alu instid0(VALU_DEP_2) | instskip(NEXT) | instid1(VALU_DEP_2)
	;; [unrolled: 3-line block ×3, first 2 shown]
	v_cndmask_b32_e64 v22, v22, v35, s9
	v_cndmask_b32_e64 v23, v20, v32, s10
	s_delay_alu instid0(VALU_DEP_2) | instskip(SKIP_1) | instid1(VALU_DEP_2)
	v_cndmask_b32_e64 v22, v22, v16, s10
	v_cndmask_b32_e64 v33, v33, v16, s18
	v_mul_f64 v[22:23], v[22:23], v[66:67]
	s_delay_alu instid0(VALU_DEP_1) | instskip(NEXT) | instid1(VALU_DEP_1)
	v_fma_f64 v[71:72], v[33:34], v[91:92], v[22:23]
	v_cndmask_b32_e64 v18, v16, v71, s19
	v_dual_mov_b32 v16, v202 :: v_dual_mov_b32 v17, v203
	s_clause 0x7
	scratch_load_b128 v[194:197], off, off offset:880
	scratch_load_b128 v[198:201], off, off offset:896
	scratch_load_b128 v[202:205], off, off offset:912
	scratch_load_b128 v[206:209], off, off offset:928
	scratch_load_b128 v[210:213], off, off offset:944
	scratch_load_b128 v[214:217], off, off offset:960
	scratch_load_b128 v[218:221], off, off offset:976
	scratch_load_b128 v[222:225], off, off offset:992
	v_cndmask_b32_e64 v19, v35, v71, s20
	v_cndmask_b32_e64 v26, v32, v72, s19
	;; [unrolled: 1-line block ×8, first 2 shown]
	s_waitcnt vmcnt(6)
	v_dual_mov_b32 v43, v200 :: v_dual_mov_b32 v44, v201
	s_clause 0x7
	scratch_load_b128 v[194:197], off, off offset:1264
	scratch_load_b128 v[198:201], off, off offset:1280
	scratch_load_b128 v[202:205], off, off offset:1296
	scratch_load_b128 v[206:209], off, off offset:1312
	scratch_load_b128 v[210:213], off, off offset:1328
	scratch_load_b128 v[214:217], off, off offset:1344
	scratch_load_b128 v[218:221], off, off offset:1360
	scratch_load_b128 v[222:225], off, off offset:1376
	v_cndmask_b32_e64 v20, v55, v71, s21
	v_mul_f64 v[55:56], v[77:78], v[66:67]
	v_cndmask_b32_e64 v27, v27, v44, s4
	s_delay_alu instid0(VALU_DEP_2) | instskip(NEXT) | instid1(VALU_DEP_1)
	v_fma_f64 v[77:78], v[89:90], v[91:92], v[55:56]
	v_cndmask_b32_e64 v57, v88, v77, s19
	v_cndmask_b32_e64 v56, v79, v77, s20
	s_delay_alu instid0(VALU_DEP_3)
	v_cndmask_b32_e64 v65, v101, v78, s19
	v_cndmask_b32_e64 v64, v87, v78, s20
	;; [unrolled: 1-line block ×7, first 2 shown]
	v_cndmask_b32_e32 v51, v193, v78, vcc_lo
	s_waitcnt vmcnt(5)
	v_mov_b32_e32 v11, v205
	s_clause 0x7
	scratch_load_b128 v[194:197], off, off offset:3568
	scratch_load_b128 v[198:201], off, off offset:3584
	;; [unrolled: 1-line block ×8, first 2 shown]
	s_waitcnt vmcnt(5)
	v_dual_cndmask_b32 v35, v82, v71 :: v_dual_mov_b32 v10, v204
	s_clause 0x7
	scratch_load_b128 v[194:197], off, off offset:1136
	scratch_load_b128 v[198:201], off, off offset:1152
	;; [unrolled: 1-line block ×8, first 2 shown]
	s_waitcnt vmcnt(4)
	v_mov_b32_e32 v36, v207
	s_clause 0x7
	scratch_load_b128 v[194:197], off, off offset:3440
	scratch_load_b128 v[198:201], off, off offset:3456
	;; [unrolled: 1-line block ×8, first 2 shown]
	v_cndmask_b32_e32 v39, v83, v72, vcc_lo
	v_cndmask_b32_e64 v28, v28, v43, s4
	v_cndmask_b32_e64 v30, v30, v43, s13
	s_delay_alu instid0(VALU_DEP_2) | instskip(NEXT) | instid1(VALU_DEP_2)
	v_cndmask_b32_e64 v28, v28, v16, s5
	v_cndmask_b32_e64 v30, v30, v16, s14
	s_delay_alu instid0(VALU_DEP_2) | instskip(NEXT) | instid1(VALU_DEP_2)
	v_cndmask_b32_e64 v28, v28, v10, s6
	v_cndmask_b32_e64 v30, v30, v10, s15
	s_waitcnt vmcnt(4)
	v_mov_b32_e32 v40, v206
	s_clause 0x7
	scratch_load_b128 v[194:197], off, off offset:3056
	scratch_load_b128 v[198:201], off, off offset:3072
	;; [unrolled: 1-line block ×8, first 2 shown]
	v_cndmask_b32_e64 v28, v28, v40, s7
	v_cndmask_b32_e64 v30, v30, v40, s16
	s_waitcnt vmcnt(4)
	v_mov_b32_e32 v33, v209
	s_clause 0x7
	scratch_load_b128 v[194:197], off, off offset:3312
	scratch_load_b128 v[198:201], off, off offset:3328
	;; [unrolled: 1-line block ×8, first 2 shown]
	s_waitcnt vmcnt(4)
	v_mov_b32_e32 v37, v208
	s_clause 0x7
	scratch_load_b128 v[194:197], off, off offset:2928
	scratch_load_b128 v[198:201], off, off offset:2944
	;; [unrolled: 1-line block ×8, first 2 shown]
	v_cndmask_b32_e64 v29, v28, v37, s9
	v_cndmask_b32_e64 v31, v30, v37, s17
	s_waitcnt vmcnt(3)
	v_mov_b32_e32 v32, v211
	s_clause 0x7
	scratch_load_b128 v[194:197], off, off offset:3184
	scratch_load_b128 v[198:201], off, off offset:3200
	;; [unrolled: 1-line block ×8, first 2 shown]
	s_waitcnt vmcnt(3)
	v_mov_b32_e32 v34, v210
	s_clause 0x7
	scratch_load_b128 v[194:197], off, off offset:1008
	scratch_load_b128 v[198:201], off, off offset:1024
	scratch_load_b128 v[202:205], off, off offset:1040
	scratch_load_b128 v[206:209], off, off offset:1056
	scratch_load_b128 v[210:213], off, off offset:1072
	scratch_load_b128 v[214:217], off, off offset:1088
	scratch_load_b128 v[218:221], off, off offset:1104
	scratch_load_b128 v[222:225], off, off offset:1120
	v_cndmask_b32_e64 v27, v27, v17, s5
	s_delay_alu instid0(VALU_DEP_1) | instskip(NEXT) | instid1(VALU_DEP_1)
	v_cndmask_b32_e64 v27, v27, v11, s6
	v_cndmask_b32_e64 v27, v27, v36, s7
	s_delay_alu instid0(VALU_DEP_1) | instskip(NEXT) | instid1(VALU_DEP_1)
	v_cndmask_b32_e64 v27, v27, v33, s9
	v_cndmask_b32_e64 v28, v27, v32, s10
	;; [unrolled: 1-line block ×4, first 2 shown]
	s_delay_alu instid0(VALU_DEP_2) | instskip(NEXT) | instid1(VALU_DEP_2)
	v_mul_f64 v[27:28], v[27:28], v[66:67]
	v_cndmask_b32_e64 v29, v29, v251, s12
	s_delay_alu instid0(VALU_DEP_1) | instskip(NEXT) | instid1(VALU_DEP_1)
	v_cndmask_b32_e64 v29, v29, v44, s13
	v_cndmask_b32_e64 v29, v29, v17, s14
	s_delay_alu instid0(VALU_DEP_1) | instskip(NEXT) | instid1(VALU_DEP_1)
	v_cndmask_b32_e64 v29, v29, v11, s15
	;; [unrolled: 3-line block ×3, first 2 shown]
	v_cndmask_b32_e64 v30, v29, v32, s18
	v_cndmask_b32_e64 v29, v31, v34, s18
	s_delay_alu instid0(VALU_DEP_1) | instskip(NEXT) | instid1(VALU_DEP_1)
	v_fma_f64 v[73:74], v[29:30], v[91:92], v[27:28]
	v_cndmask_b32_e32 v60, v17, v74, vcc_lo
	v_cndmask_b32_e64 v31, v11, v74, s22
	s_delay_alu instid0(VALU_DEP_3)
	v_cndmask_b32_e64 v27, v10, v73, s22
	v_cndmask_b32_e64 v28, v40, v73, s21
	v_cndmask_b32_e32 v58, v16, v73, vcc_lo
	v_cndmask_b32_e64 v29, v37, v73, s20
	v_cndmask_b32_e64 v59, v43, v73, s8
	;; [unrolled: 1-line block ×11, first 2 shown]
	v_cmp_eq_u32_e64 s2, 4, v131
	v_cmp_eq_u32_e64 s3, 5, v131
	v_cndmask_b32_e64 v43, v43, v117, s4
	v_cndmask_b32_e64 v44, v44, v116, s4
	v_cmp_eq_u32_e64 s4, 6, v131
	s_delay_alu instid0(VALU_DEP_3) | instskip(NEXT) | instid1(VALU_DEP_3)
	v_cndmask_b32_e64 v43, v43, v127, s5
	v_cndmask_b32_e64 v44, v44, v126, s5
	v_cmp_eq_u32_e64 s5, 3, v131
	s_waitcnt vmcnt(5)
	v_mov_b32_e32 v11, v205
	s_clause 0x7
	scratch_load_b128 v[194:197], off, off offset:2032
	scratch_load_b128 v[198:201], off, off offset:2048
	;; [unrolled: 1-line block ×8, first 2 shown]
	s_waitcnt vmcnt(5)
	v_mov_b32_e32 v10, v204
	s_clause 0x7
	scratch_load_b128 v[194:197], off, off offset:1904
	scratch_load_b128 v[198:201], off, off offset:1920
	;; [unrolled: 1-line block ×8, first 2 shown]
	v_cndmask_b32_e64 v43, v43, v11, s6
	v_cndmask_b32_e64 v44, v44, v10, s6
	;; [unrolled: 1-line block ×3, first 2 shown]
	s_delay_alu instid0(VALU_DEP_3)
	v_cndmask_b32_e64 v43, v43, v80, s7
	v_cmp_eq_u32_e64 s6, 7, v131
	s_waitcnt vmcnt(4)
	v_mov_b32_e32 v40, v206
	s_clause 0x7
	scratch_load_b128 v[194:197], off, off offset:1520
	scratch_load_b128 v[198:201], off, off offset:1536
	scratch_load_b128 v[202:205], off, off offset:1552
	scratch_load_b128 v[206:209], off, off offset:1568
	scratch_load_b128 v[210:213], off, off offset:1584
	scratch_load_b128 v[214:217], off, off offset:1600
	scratch_load_b128 v[218:221], off, off offset:1616
	scratch_load_b128 v[222:225], off, off offset:1632
	s_waitcnt vmcnt(4)
	v_mov_b32_e32 v16, v209
	s_clause 0x7
	scratch_load_b128 v[194:197], off, off offset:1776
	scratch_load_b128 v[198:201], off, off offset:1792
	scratch_load_b128 v[202:205], off, off offset:1808
	scratch_load_b128 v[206:209], off, off offset:1824
	scratch_load_b128 v[210:213], off, off offset:1840
	scratch_load_b128 v[214:217], off, off offset:1856
	scratch_load_b128 v[218:221], off, off offset:1872
	scratch_load_b128 v[222:225], off, off offset:1888
	;; [unrolled: 11-line block ×3, first 2 shown]
	v_cndmask_b32_e64 v44, v44, v40, s7
	v_cndmask_b32_e64 v46, v46, v40, s16
	v_cmp_eq_u32_e64 s7, 8, v131
	s_delay_alu instid0(VALU_DEP_3) | instskip(NEXT) | instid1(VALU_DEP_3)
	v_cndmask_b32_e64 v45, v44, v37, s9
	v_cndmask_b32_e64 v47, v46, v37, s17
	s_waitcnt vmcnt(3)
	v_mov_b32_e32 v17, v211
	s_clause 0x7
	scratch_load_b128 v[194:197], off, off offset:1648
	scratch_load_b128 v[198:201], off, off offset:1664
	;; [unrolled: 1-line block ×8, first 2 shown]
	v_cndmask_b32_e64 v43, v43, v16, s9
	v_cmp_eq_u32_e64 s9, 8, v84
	s_delay_alu instid0(VALU_DEP_2) | instskip(SKIP_2) | instid1(VALU_DEP_1)
	v_cndmask_b32_e64 v44, v43, v17, s10
	s_waitcnt vmcnt(3)
	v_mov_b32_e32 v36, v210
	v_cndmask_b32_e64 v43, v45, v36, s10
	v_cndmask_b32_e64 v45, v253, v243, s11
	v_cmp_eq_u32_e64 s11, 5, v84
	v_cmp_eq_u32_e64 s10, 7, v84
	s_delay_alu instid0(VALU_DEP_4) | instskip(NEXT) | instid1(VALU_DEP_4)
	v_mul_f64 v[43:44], v[43:44], v[66:67]
	v_cndmask_b32_e64 v45, v45, v229, s12
	v_cmp_eq_u32_e64 s12, 6, v84
	s_delay_alu instid0(VALU_DEP_2) | instskip(SKIP_1) | instid1(VALU_DEP_2)
	v_cndmask_b32_e64 v45, v45, v117, s13
	v_cmp_eq_u32_e64 s13, 4, v84
	v_cndmask_b32_e64 v45, v45, v127, s14
	v_cmp_eq_u32_e64 s14, 3, v84
	s_delay_alu instid0(VALU_DEP_2) | instskip(SKIP_1) | instid1(VALU_DEP_2)
	v_cndmask_b32_e64 v45, v45, v11, s15
	v_cmp_eq_u32_e64 s15, 2, v84
	;; [unrolled: 5-line block ×3, first 2 shown]
	v_cndmask_b32_e64 v46, v45, v17, s18
	v_cndmask_b32_e64 v45, v47, v36, s18
	v_lshl_add_u32 v47, v115, 2, 16
	v_cmp_eq_u32_e64 s18, 1, v131
	scratch_load_b32 v47, v47, off
	v_fma_f64 v[75:76], v[45:46], v[91:92], v[43:44]
	v_cndmask_b32_e32 v50, v192, v77, vcc_lo
	s_delay_alu instid0(VALU_DEP_2) | instskip(SKIP_1) | instid1(VALU_DEP_4)
	v_cndmask_b32_e64 v46, v36, v75, s19
	v_cndmask_b32_e64 v45, v37, v75, s20
	;; [unrolled: 1-line block ×3, first 2 shown]
	v_cndmask_b32_e32 v17, v127, v76, vcc_lo
	v_cndmask_b32_e64 v52, v16, v76, s20
	v_cmp_eq_u32_e64 s19, 1, v115
	v_cmp_eq_u32_e64 s20, 0, v115
	v_cndmask_b32_e64 v44, v40, v75, s21
	v_cndmask_b32_e64 v49, v80, v76, s21
	v_cmp_eq_u32_e64 s21, 2, v115
	v_cndmask_b32_e64 v66, v234, v77, s19
	v_cndmask_b32_e64 v69, v235, v78, s19
	;; [unrolled: 1-line block ×14, first 2 shown]
	v_cndmask_b32_e32 v16, v126, v75, vcc_lo
	v_cndmask_b32_e64 v77, v77, v71, s15
	v_cndmask_b32_e64 v78, v78, v70, s15
	;; [unrolled: 1-line block ×36, first 2 shown]
	v_add_f64 v[81:82], -v[77:78], 0
	v_cndmask_b32_e64 v75, v95, v94, s17
	v_add_f64 v[83:84], v[79:80], -v[77:78]
	v_cndmask_b32_e64 v96, v244, v73, s20
	v_cndmask_b32_e64 v106, v243, v76, s19
	;; [unrolled: 1-line block ×10, first 2 shown]
	s_delay_alu instid0(VALU_DEP_2) | instskip(NEXT) | instid1(VALU_DEP_2)
	v_cndmask_b32_e64 v75, v75, v35, s13
	v_cndmask_b32_e64 v76, v76, v97, s16
	s_delay_alu instid0(VALU_DEP_2) | instskip(NEXT) | instid1(VALU_DEP_2)
	v_cndmask_b32_e64 v75, v75, v22, s11
	v_cndmask_b32_e64 v76, v76, v61, s5
	;; [unrolled: 3-line block ×3, first 2 shown]
	s_delay_alu instid0(VALU_DEP_1) | instskip(NEXT) | instid1(VALU_DEP_1)
	v_cndmask_b32_e64 v76, v76, v31, s3
	v_cndmask_b32_e64 v76, v76, v32, s4
	v_div_scale_f64 v[85:86], null, v[83:84], v[83:84], v[81:82]
	v_div_scale_f64 v[91:92], vcc_lo, v[81:82], v[83:84], v[81:82]
	s_delay_alu instid0(VALU_DEP_3) | instskip(NEXT) | instid1(VALU_DEP_3)
	v_cndmask_b32_e64 v76, v76, v33, s6
	v_rcp_f64_e32 v[87:88], v[85:86]
	s_waitcnt_depctr 0xfff
	v_fma_f64 v[89:90], -v[85:86], v[87:88], 1.0
	s_delay_alu instid0(VALU_DEP_1) | instskip(NEXT) | instid1(VALU_DEP_1)
	v_fma_f64 v[87:88], v[87:88], v[89:90], v[87:88]
	v_fma_f64 v[89:90], -v[85:86], v[87:88], 1.0
	s_waitcnt vmcnt(0)
	v_lshl_add_u32 v14, v47, 2, 16
	scratch_load_b32 v14, v14, off
	v_fma_f64 v[87:88], v[87:88], v[89:90], v[87:88]
	s_delay_alu instid0(VALU_DEP_1) | instskip(NEXT) | instid1(VALU_DEP_1)
	v_mul_f64 v[89:90], v[91:92], v[87:88]
	v_fma_f64 v[85:86], -v[85:86], v[89:90], v[91:92]
	v_cndmask_b32_e64 v92, v240, v73, s19
	v_cndmask_b32_e64 v91, v250, v73, s21
	;; [unrolled: 1-line block ×3, first 2 shown]
	s_delay_alu instid0(VALU_DEP_1)
	v_cndmask_b32_e64 v73, v73, v93, s16
	v_div_fmas_f64 v[85:86], v[85:86], v[87:88], v[89:90]
	v_cndmask_b32_e64 v89, v247, v72, s19
	v_cndmask_b32_e64 v90, v249, v72, s20
	;; [unrolled: 1-line block ×5, first 2 shown]
	v_cmp_eq_u32_e32 vcc_lo, 4, v47
	v_cndmask_b32_e64 v74, v90, v89, s17
	v_cndmask_b32_e64 v72, v90, v89, s18
	v_cndmask_b32_e64 v111, v87, v101, s16
	v_cndmask_b32_e64 v87, v109, v101, s15
	s_delay_alu instid0(VALU_DEP_4) | instskip(NEXT) | instid1(VALU_DEP_4)
	v_cndmask_b32_e64 v74, v74, v88, s15
	v_cndmask_b32_e64 v72, v72, v88, s16
	s_delay_alu instid0(VALU_DEP_2) | instskip(NEXT) | instid1(VALU_DEP_1)
	v_cndmask_b32_e64 v74, v74, v42, s14
	v_cndmask_b32_e64 v74, v74, v39, s13
	s_delay_alu instid0(VALU_DEP_1) | instskip(NEXT) | instid1(VALU_DEP_1)
	v_cndmask_b32_e64 v74, v74, v23, s11
	v_cndmask_b32_e64 v74, v74, v24, s12
	v_div_fixup_f64 v[81:82], v[85:86], v[83:84], v[81:82]
	v_cndmask_b32_e64 v83, v96, v92, s18
	v_cndmask_b32_e64 v84, v99, v98, s17
	v_cndmask_b32_e64 v85, v96, v92, s17
	v_cndmask_b32_e64 v86, v107, v106, s18
	s_delay_alu instid0(VALU_DEP_4) | instskip(NEXT) | instid1(VALU_DEP_4)
	v_cndmask_b32_e64 v110, v83, v91, s16
	v_cndmask_b32_e64 v83, v84, v97, s15
	s_delay_alu instid0(VALU_DEP_4) | instskip(NEXT) | instid1(VALU_DEP_4)
	v_cndmask_b32_e64 v84, v85, v91, s15
	v_cndmask_b32_e64 v85, v86, v105, s16
	;; [unrolled: 1-line block ×30, first 2 shown]
	v_add_f64 v[6:7], -v[81:82], 1.0
	v_cndmask_b32_e64 v75, v74, v34, s9
	v_cndmask_b32_e64 v74, v108, v30, s9
	;; [unrolled: 1-line block ×14, first 2 shown]
	v_mul_f64 v[72:73], v[72:73], v[6:7]
	v_mul_f64 v[74:75], v[74:75], v[6:7]
	;; [unrolled: 1-line block ×3, first 2 shown]
	v_cndmask_b32_e64 v83, v109, v58, s2
	v_mul_f64 v[6:7], v[77:78], v[6:7]
	v_cndmask_b32_e64 v84, v108, v18, s7
	v_cndmask_b32_e64 v108, v111, v100, s5
	;; [unrolled: 1-line block ×4, first 2 shown]
	v_cmp_eq_u32_e64 s5, 0, v47
	s_delay_alu instid0(VALU_DEP_4) | instskip(NEXT) | instid1(VALU_DEP_4)
	v_cndmask_b32_e64 v83, v108, v16, s2
	v_cndmask_b32_e64 v78, v78, v48, s3
	s_delay_alu instid0(VALU_DEP_4) | instskip(SKIP_1) | instid1(VALU_DEP_4)
	v_cndmask_b32_e64 v77, v77, v28, s4
	v_cmp_eq_u32_e64 s2, 3, v47
	v_cndmask_b32_e64 v83, v83, v43, s3
	s_delay_alu instid0(VALU_DEP_4) | instskip(SKIP_1) | instid1(VALU_DEP_3)
	v_cndmask_b32_e64 v78, v78, v49, s4
	v_cmp_eq_u32_e64 s3, 2, v47
	v_cndmask_b32_e64 v83, v83, v44, s4
	s_delay_alu instid0(VALU_DEP_3) | instskip(SKIP_1) | instid1(VALU_DEP_3)
	v_cndmask_b32_e64 v78, v78, v52, s6
	v_cmp_eq_u32_e64 s4, 1, v47
	v_cndmask_b32_e64 v83, v83, v45, s6
	v_fma_f64 v[72:73], v[84:85], v[81:82], v[72:73]
	v_cndmask_b32_e64 v84, v77, v29, s6
	v_cndmask_b32_e64 v77, v76, v34, s7
	s_delay_alu instid0(VALU_DEP_2) | instskip(NEXT) | instid1(VALU_DEP_1)
	v_cndmask_b32_e64 v76, v84, v30, s7
	v_fma_f64 v[74:75], v[76:77], v[81:82], v[74:75]
	v_cndmask_b32_e64 v77, v78, v54, s7
	v_fma_f64 v[78:79], v[79:80], v[81:82], v[6:7]
	v_cndmask_b32_e64 v76, v83, v46, s7
	s_delay_alu instid0(VALU_DEP_1)
	v_fma_f64 v[76:77], v[76:77], v[81:82], v[86:87]
	v_cndmask_b32_e32 v83, v39, v73, vcc_lo
	v_cndmask_b32_e32 v82, v35, v72, vcc_lo
	v_cndmask_b32_e64 v111, v42, v73, s2
	v_cndmask_b32_e64 v110, v38, v72, s2
	;; [unrolled: 1-line block ×7, first 2 shown]
	s_waitcnt vmcnt(0)
	scratch_store_b32 off, v14, off offset:108
	v_cndmask_b32_e64 v248, v95, v72, s5
	v_cndmask_b32_e32 v203, v60, v75, vcc_lo
	v_cndmask_b32_e64 v7, v61, v75, s2
	v_cndmask_b32_e64 v6, v59, v74, s2
	s_clause 0x7
	scratch_store_b128 off, v[0:3], off offset:880
	scratch_store_b128 off, v[4:7], off offset:896
	;; [unrolled: 1-line block ×8, first 2 shown]
	v_cndmask_b32_e32 v202, v58, v74, vcc_lo
	v_dual_cndmask_b32 v192, v50, v78 :: v_dual_mov_b32 v35, v115
	v_cndmask_b32_e64 v228, v101, v76, s3
	v_cndmask_b32_e64 v117, v104, v77, s2
	v_cndmask_b32_e64 v116, v100, v76, s2
	v_cndmask_b32_e64 v183, v41, v79, s2
	v_cndmask_b32_e64 v182, v40, v78, s2
	v_cmp_eq_u32_e64 s2, 7, v47
	v_cndmask_b32_e64 v251, v97, v75, s3
	v_cndmask_b32_e64 v250, v91, v74, s3
	;; [unrolled: 1-line block ×5, first 2 shown]
	v_cmp_eq_u32_e64 s3, 6, v47
	v_cndmask_b32_e64 v241, v98, v75, s4
	v_cndmask_b32_e64 v240, v92, v74, s4
	v_cndmask_b32_e64 v243, v106, v77, s4
	v_cndmask_b32_e64 v242, v102, v76, s4
	v_cndmask_b32_e64 v235, v69, v79, s4
	v_cndmask_b32_e64 v234, v66, v78, s4
	v_cmp_eq_u32_e64 s4, 5, v47
	v_cndmask_b32_e64 v245, v99, v75, s5
	v_cndmask_b32_e64 v244, v96, v74, s5
	;; [unrolled: 1-line block ×8, first 2 shown]
	v_cndmask_b32_e32 v193, v51, v79, vcc_lo
	v_dual_cndmask_b32 v127, v17, v77 :: v_dual_cndmask_b32 v126, v16, v76
	v_cmp_eq_u32_e32 vcc_lo, 8, v47
	v_cndmask_b32_e32 v17, v26, v73, vcc_lo
	s_clause 0x7
	scratch_store_b128 off, v[0:3], off offset:3696
	scratch_store_b128 off, v[4:7], off offset:3712
	;; [unrolled: 1-line block ×8, first 2 shown]
	v_dual_cndmask_b32 v101, v65, v79 :: v_dual_cndmask_b32 v16, v18, v72
	s_clause 0x7
	scratch_store_b128 off, v[0:3], off offset:3824
	scratch_store_b128 off, v[4:7], off offset:3840
	scratch_store_b128 off, v[8:11], off offset:3856
	scratch_store_b128 off, v[12:15], off offset:3872
	scratch_store_b128 off, v[16:19], off offset:3888
	scratch_store_b128 off, v[20:23], off offset:3904
	scratch_store_b128 off, v[24:27], off offset:3920
	scratch_store_b128 off, v[28:31], off offset:3936
	v_cndmask_b32_e64 v15, v25, v73, s2
	s_clause 0x7
	scratch_store_b128 off, v[0:3], off offset:2160
	scratch_store_b128 off, v[4:7], off offset:2176
	scratch_store_b128 off, v[8:11], off offset:2192
	scratch_store_b128 off, v[12:15], off offset:2208
	scratch_store_b128 off, v[16:19], off offset:2224
	scratch_store_b128 off, v[20:23], off offset:2240
	scratch_store_b128 off, v[24:27], off offset:2256
	scratch_store_b128 off, v[28:31], off offset:2272
	v_cndmask_b32_e64 v14, v19, v72, s2
	;; [unrolled: 10-line block ×6, first 2 shown]
	s_clause 0x7
	scratch_store_b128 off, v[0:3], off offset:2544
	scratch_store_b128 off, v[4:7], off offset:2560
	;; [unrolled: 1-line block ×8, first 2 shown]
	v_cndmask_b32_e32 v17, v34, v75, vcc_lo
	s_clause 0x7
	scratch_store_b128 off, v[0:3], off offset:2928
	scratch_store_b128 off, v[4:7], off offset:2944
	;; [unrolled: 1-line block ×8, first 2 shown]
	v_cndmask_b32_e32 v16, v30, v74, vcc_lo
	s_clause 0x7
	scratch_store_b128 off, v[0:3], off offset:3184
	scratch_store_b128 off, v[4:7], off offset:3200
	scratch_store_b128 off, v[8:11], off offset:3216
	scratch_store_b128 off, v[12:15], off offset:3232
	scratch_store_b128 off, v[16:19], off offset:3248
	scratch_store_b128 off, v[20:23], off offset:3264
	scratch_store_b128 off, v[24:27], off offset:3280
	scratch_store_b128 off, v[28:31], off offset:3296
	v_cndmask_b32_e64 v16, v33, v75, s2
	s_clause 0x7
	scratch_store_b128 off, v[1:4], off offset:3056
	scratch_store_b128 off, v[5:8], off offset:3072
	scratch_store_b128 off, v[9:12], off offset:3088
	scratch_store_b128 off, v[13:16], off offset:3104
	scratch_store_b128 off, v[17:20], off offset:3120
	scratch_store_b128 off, v[21:24], off offset:3136
	scratch_store_b128 off, v[25:28], off offset:3152
	scratch_store_b128 off, v[29:32], off offset:3168
	v_cndmask_b32_e64 v14, v29, v74, s2
	;; [unrolled: 10-line block ×6, first 2 shown]
	s_clause 0x7
	scratch_store_b128 off, v[0:3], off offset:3568
	scratch_store_b128 off, v[4:7], off offset:3584
	;; [unrolled: 1-line block ×8, first 2 shown]
	v_cndmask_b32_e32 v17, v54, v77, vcc_lo
	s_clause 0x7
	scratch_store_b128 off, v[0:3], off offset:1392
	scratch_store_b128 off, v[4:7], off offset:1408
	;; [unrolled: 1-line block ×8, first 2 shown]
	v_cndmask_b32_e32 v16, v46, v76, vcc_lo
	s_clause 0x7
	scratch_store_b128 off, v[0:3], off offset:1648
	scratch_store_b128 off, v[4:7], off offset:1664
	scratch_store_b128 off, v[8:11], off offset:1680
	scratch_store_b128 off, v[12:15], off offset:1696
	scratch_store_b128 off, v[16:19], off offset:1712
	scratch_store_b128 off, v[20:23], off offset:1728
	scratch_store_b128 off, v[24:27], off offset:1744
	scratch_store_b128 off, v[28:31], off offset:1760
	v_cndmask_b32_e64 v16, v52, v77, s2
	s_clause 0x7
	scratch_store_b128 off, v[1:4], off offset:1520
	scratch_store_b128 off, v[5:8], off offset:1536
	scratch_store_b128 off, v[9:12], off offset:1552
	scratch_store_b128 off, v[13:16], off offset:1568
	scratch_store_b128 off, v[17:20], off offset:1584
	scratch_store_b128 off, v[21:24], off offset:1600
	scratch_store_b128 off, v[25:28], off offset:1616
	scratch_store_b128 off, v[29:32], off offset:1632
	v_cndmask_b32_e64 v14, v45, v76, s2
	;; [unrolled: 10-line block ×5, first 2 shown]
	s_clause 0x7
	scratch_store_b128 off, v[0:3], off offset:2032
	scratch_store_b128 off, v[4:7], off offset:2048
	;; [unrolled: 1-line block ×8, first 2 shown]
	v_cndmask_b32_e32 v16, v57, v78, vcc_lo
	s_clause 0x7
	scratch_store_b128 off, v[0:3], off offset:496
	scratch_store_b128 off, v[4:7], off offset:512
	scratch_store_b128 off, v[8:11], off offset:528
	scratch_store_b128 off, v[12:15], off offset:544
	scratch_store_b128 off, v[16:19], off offset:560
	scratch_store_b128 off, v[20:23], off offset:576
	scratch_store_b128 off, v[24:27], off offset:592
	scratch_store_b128 off, v[28:31], off offset:608
	v_cndmask_b32_e64 v16, v64, v79, s2
	s_clause 0x7
	scratch_store_b128 off, v[1:4], off offset:112
	scratch_store_b128 off, v[5:8], off offset:128
	scratch_store_b128 off, v[9:12], off offset:144
	scratch_store_b128 off, v[13:16], off offset:160
	scratch_store_b128 off, v[17:20], off offset:176
	scratch_store_b128 off, v[21:24], off offset:192
	scratch_store_b128 off, v[25:28], off offset:208
	scratch_store_b128 off, v[29:32], off offset:224
	v_cndmask_b32_e64 v14, v56, v78, s2
	s_clause 0x7
	scratch_store_b128 off, v[0:3], off offset:624
	scratch_store_b128 off, v[4:7], off offset:640
	scratch_store_b128 off, v[8:11], off offset:656
	scratch_store_b128 off, v[12:15], off offset:672
	scratch_store_b128 off, v[16:19], off offset:688
	scratch_store_b128 off, v[20:23], off offset:704
	scratch_store_b128 off, v[24:27], off offset:720
	scratch_store_b128 off, v[28:31], off offset:736
	v_cndmask_b32_e64 v14, v63, v79, s3
	s_clause 0x7
	scratch_store_b128 off, v[1:4], off offset:240
	scratch_store_b128 off, v[5:8], off offset:256
	scratch_store_b128 off, v[9:12], off offset:272
	scratch_store_b128 off, v[13:16], off offset:288
	scratch_store_b128 off, v[17:20], off offset:304
	scratch_store_b128 off, v[21:24], off offset:320
	scratch_store_b128 off, v[25:28], off offset:336
	scratch_store_b128 off, v[29:32], off offset:352
	v_cndmask_b32_e64 v14, v55, v78, s3
	s_clause 0x7
	scratch_store_b128 off, v[2:5], off offset:752
	scratch_store_b128 off, v[6:9], off offset:768
	scratch_store_b128 off, v[10:13], off offset:784
	scratch_store_b128 off, v[14:17], off offset:800
	scratch_store_b128 off, v[18:21], off offset:816
	scratch_store_b128 off, v[22:25], off offset:832
	scratch_store_b128 off, v[26:29], off offset:848
	scratch_store_b128 off, v[30:33], off offset:864
	v_cndmask_b32_e64 v11, v62, v79, s4
	s_clause 0x7
	scratch_store_b128 off, v[0:3], off offset:368
	scratch_store_b128 off, v[4:7], off offset:384
	;; [unrolled: 1-line block ×8, first 2 shown]
.LBB2_108:
	s_or_b32 exec_lo, exec_lo, s26
	v_mov_b32_e32 v14, -1
	scratch_store_b32 off, v14, off offset:104
	s_and_saveexec_b32 s2, s0
	s_cbranch_execz .LBB2_117
; %bb.109:
	s_mov_b32 s3, 0
	s_branch .LBB2_111
.LBB2_110:                              ;   in Loop: Header=BB2_111 Depth=1
	s_or_b32 exec_lo, exec_lo, s4
	s_waitcnt vmcnt(0)
	v_cmp_gt_i32_e32 vcc_lo, 0, v14
	v_mov_b32_e32 v114, v14
	s_or_b32 s3, vcc_lo, s3
	s_delay_alu instid0(SALU_CYCLE_1)
	s_and_not1_b32 exec_lo, exec_lo, s3
	s_cbranch_execz .LBB2_117
.LBB2_111:                              ; =>This Inner Loop Header: Depth=1
	s_clause 0x7
	scratch_load_b128 v[48:51], off, off offset:368
	scratch_load_b128 v[52:55], off, off offset:384
	;; [unrolled: 1-line block ×8, first 2 shown]
	v_cmp_eq_u32_e32 vcc_lo, 1, v114
	v_cmp_eq_u32_e64 s0, 2, v114
	v_cndmask_b32_e32 v14, v237, v235, vcc_lo
	v_cndmask_b32_e32 v18, v236, v234, vcc_lo
	v_cmp_eq_u32_e32 vcc_lo, 3, v114
	s_delay_alu instid0(VALU_DEP_3) | instskip(NEXT) | instid1(VALU_DEP_3)
	v_cndmask_b32_e64 v14, v14, v255, s0
	v_cndmask_b32_e64 v18, v18, v254, s0
	s_mov_b32 s0, 0
	s_delay_alu instid0(VALU_DEP_2) | instskip(NEXT) | instid1(VALU_DEP_2)
	v_cndmask_b32_e32 v14, v14, v183, vcc_lo
	v_cndmask_b32_e32 v18, v18, v182, vcc_lo
	v_cmp_eq_u32_e32 vcc_lo, 4, v114
	s_delay_alu instid0(VALU_DEP_3) | instskip(NEXT) | instid1(VALU_DEP_3)
	v_cndmask_b32_e32 v14, v14, v193, vcc_lo
	v_cndmask_b32_e32 v18, v18, v192, vcc_lo
	v_cmp_eq_u32_e32 vcc_lo, 5, v114
	s_delay_alu instid0(VALU_DEP_2)
	v_cndmask_b32_e32 v18, v18, v154, vcc_lo
	s_waitcnt vmcnt(5)
	v_cndmask_b32_e32 v14, v14, v59, vcc_lo
	s_clause 0x7
	scratch_load_b128 v[48:51], off, off offset:240
	scratch_load_b128 v[52:55], off, off offset:256
	;; [unrolled: 1-line block ×8, first 2 shown]
	v_cmp_eq_u32_e32 vcc_lo, 6, v114
	s_waitcnt vmcnt(4)
	v_cndmask_b32_e32 v14, v14, v61, vcc_lo
	s_clause 0x7
	scratch_load_b128 v[48:51], off, off offset:752
	scratch_load_b128 v[52:55], off, off offset:768
	;; [unrolled: 1-line block ×8, first 2 shown]
	s_waitcnt vmcnt(4)
	v_cndmask_b32_e32 v18, v18, v60, vcc_lo
	s_clause 0x7
	scratch_load_b128 v[48:51], off, off offset:112
	scratch_load_b128 v[52:55], off, off offset:128
	scratch_load_b128 v[56:59], off, off offset:144
	scratch_load_b128 v[60:63], off, off offset:160
	scratch_load_b128 v[64:67], off, off offset:176
	scratch_load_b128 v[68:71], off, off offset:192
	scratch_load_b128 v[72:75], off, off offset:208
	scratch_load_b128 v[76:79], off, off offset:224
	v_cmp_eq_u32_e32 vcc_lo, 7, v114
	s_waitcnt vmcnt(4)
	v_cndmask_b32_e32 v14, v14, v63, vcc_lo
	s_clause 0x7
	scratch_load_b128 v[48:51], off, off offset:624
	scratch_load_b128 v[52:55], off, off offset:640
	;; [unrolled: 1-line block ×8, first 2 shown]
	s_waitcnt vmcnt(4)
	v_cndmask_b32_e32 v18, v18, v62, vcc_lo
	s_clause 0x7
	scratch_load_b128 v[48:51], off, off offset:496
	scratch_load_b128 v[52:55], off, off offset:512
	;; [unrolled: 1-line block ×8, first 2 shown]
	v_cmp_eq_u32_e32 vcc_lo, 8, v114
	v_cndmask_b32_e32 v19, v14, v101, vcc_lo
	s_waitcnt vmcnt(3)
	v_cndmask_b32_e32 v18, v18, v64, vcc_lo
	s_delay_alu instid0(VALU_DEP_1) | instskip(SKIP_3) | instid1(SALU_CYCLE_1)
	v_cmp_ngt_f64_e32 vcc_lo, 0, v[18:19]
	v_lshl_add_u32 v19, v114, 2, 16
                                        ; implicit-def: $vgpr18
	scratch_load_b32 v14, v19, off
	s_and_saveexec_b32 s4, vcc_lo
	s_xor_b32 s4, exec_lo, s4
	s_cbranch_execnz .LBB2_114
; %bb.112:                              ;   in Loop: Header=BB2_111 Depth=1
	s_and_not1_saveexec_b32 s4, s4
	s_cbranch_execnz .LBB2_115
.LBB2_113:                              ;   in Loop: Header=BB2_111 Depth=1
	s_or_b32 exec_lo, exec_lo, s4
	s_and_saveexec_b32 s4, s0
	s_cbranch_execz .LBB2_110
	s_branch .LBB2_116
.LBB2_114:                              ;   in Loop: Header=BB2_111 Depth=1
	scratch_load_b32 v18, off, off offset:104
                                        ; implicit-def: $vgpr19
	s_waitcnt vmcnt(0)
	v_cmp_eq_u32_e32 vcc_lo, -1, v18
	v_mov_b32_e32 v18, 0x68
	s_and_b32 s0, vcc_lo, exec_lo
	s_and_not1_saveexec_b32 s4, s4
	s_cbranch_execz .LBB2_113
.LBB2_115:                              ;   in Loop: Header=BB2_111 Depth=1
	scratch_load_b32 v20, off, off offset:108
	v_mov_b32_e32 v18, 0x6c
	s_or_b32 s0, s0, exec_lo
	s_waitcnt vmcnt(0)
	scratch_store_b32 v19, v20, off
	s_or_b32 exec_lo, exec_lo, s4
	s_and_saveexec_b32 s4, s0
	s_cbranch_execz .LBB2_110
.LBB2_116:                              ;   in Loop: Header=BB2_111 Depth=1
	scratch_store_b32 v18, v114, off
	s_branch .LBB2_110
.LBB2_117:
	s_or_b32 exec_lo, exec_lo, s2
	s_and_saveexec_b32 s0, s1
; %bb.118:
	v_max_f64 v[10:11], v[112:113], v[112:113]
	v_max_f64 v[12:13], v[128:129], v[128:129]
	v_lshl_add_u32 v14, v130, 2, 16
	s_delay_alu instid0(VALU_DEP_2) | instskip(SKIP_2) | instid1(VALU_DEP_3)
	v_min_f64 v[10:11], v[12:13], v[10:11]
	v_lshl_add_u32 v13, v35, 2, 16
	v_lshl_add_u32 v12, v47, 2, 16
	v_cmp_ngt_f64_e32 vcc_lo, 0, v[10:11]
	v_cndmask_b32_e32 v10, -1, v131, vcc_lo
	s_clause 0x2
	scratch_store_b32 v14, v35, off
	scratch_store_b32 v13, v47, off
	;; [unrolled: 1-line block ×3, first 2 shown]
; %bb.119:
	s_or_b32 exec_lo, exec_lo, s0
	scratch_load_b32 v10, off, off offset:104
	s_waitcnt vmcnt(0)
	v_cmp_lt_i32_e32 vcc_lo, -1, v10
	s_mov_b32 s8, exec_lo
	s_clause 0xf
	scratch_load_b128 v[33:36], off, off offset:880
	scratch_load_b128 v[37:40], off, off offset:896
	;; [unrolled: 1-line block ×16, first 2 shown]
	s_and_b32 s0, s8, vcc_lo
	s_waitcnt vmcnt(4)
	v_mov_b32_e32 v89, v56
	s_clause 0x7
	scratch_load_b128 v[41:44], off, off offset:2288
	scratch_load_b128 v[45:48], off, off offset:2304
	scratch_load_b128 v[49:52], off, off offset:2320
	scratch_load_b128 v[53:56], off, off offset:2336
	scratch_load_b128 v[57:60], off, off offset:2352
	scratch_load_b128 v[61:64], off, off offset:2368
	scratch_load_b128 v[65:68], off, off offset:2384
	scratch_load_b128 v[69:72], off, off offset:2400
	s_waitcnt vmcnt(4)
	v_mov_b32_e32 v90, v54
	s_clause 0x7
	scratch_load_b128 v[41:44], off, off offset:2416
	scratch_load_b128 v[45:48], off, off offset:2432
	scratch_load_b128 v[49:52], off, off offset:2448
	scratch_load_b128 v[53:56], off, off offset:2464
	scratch_load_b128 v[57:60], off, off offset:2480
	scratch_load_b128 v[61:64], off, off offset:2496
	scratch_load_b128 v[65:68], off, off offset:2512
	scratch_load_b128 v[69:72], off, off offset:2528
	;; [unrolled: 11-line block ×5, first 2 shown]
	s_waitcnt vmcnt(4)
	v_mov_b32_e32 v94, v55
	s_mov_b32 exec_lo, s0
	s_cbranch_execz .LBB2_123
; %bb.120:
	s_clause 0x7
	scratch_load_b128 v[41:44], off, off offset:1392
	scratch_load_b128 v[45:48], off, off offset:1408
	;; [unrolled: 1-line block ×8, first 2 shown]
	s_mov_b32 s9, 0
	v_mov_b32_e32 v6, v110
	s_waitcnt vmcnt(3)
	v_mov_b32_e32 v17, v58
	s_clause 0x7
	scratch_load_b128 v[41:44], off, off offset:1520
	scratch_load_b128 v[45:48], off, off offset:1536
	;; [unrolled: 1-line block ×8, first 2 shown]
	s_waitcnt vmcnt(4)
	v_dual_mov_b32 v11, v10 :: v_dual_mov_b32 v16, v56
	s_clause 0x7
	scratch_load_b128 v[41:44], off, off offset:1008
	scratch_load_b128 v[45:48], off, off offset:1024
	scratch_load_b128 v[49:52], off, off offset:1040
	scratch_load_b128 v[53:56], off, off offset:1056
	scratch_load_b128 v[57:60], off, off offset:1072
	scratch_load_b128 v[61:64], off, off offset:1088
	scratch_load_b128 v[65:68], off, off offset:1104
	scratch_load_b128 v[69:72], off, off offset:1120
	s_waitcnt vmcnt(5)
	v_mov_b32_e32 v19, v52
	s_clause 0x7
	scratch_load_b128 v[41:44], off, off offset:1648
	scratch_load_b128 v[45:48], off, off offset:1664
	scratch_load_b128 v[49:52], off, off offset:1680
	scratch_load_b128 v[53:56], off, off offset:1696
	scratch_load_b128 v[57:60], off, off offset:1712
	scratch_load_b128 v[61:64], off, off offset:1728
	scratch_load_b128 v[65:68], off, off offset:1744
	scratch_load_b128 v[69:72], off, off offset:1760
	s_waitcnt vmcnt(3)
	v_mov_b32_e32 v20, v57
	;; [unrolled: 11-line block ×3, first 2 shown]
	s_clause 0x7
	scratch_load_b128 v[41:44], off, off offset:1904
	scratch_load_b128 v[45:48], off, off offset:1920
	;; [unrolled: 1-line block ×8, first 2 shown]
	s_waitcnt vmcnt(4)
	v_dual_mov_b32 v7, v111 :: v_dual_mov_b32 v22, v53
	s_clause 0x7
	scratch_load_b128 v[41:44], off, off offset:2032
	scratch_load_b128 v[45:48], off, off offset:2048
	scratch_load_b128 v[49:52], off, off offset:2064
	scratch_load_b128 v[53:56], off, off offset:2080
	scratch_load_b128 v[57:60], off, off offset:2096
	scratch_load_b128 v[61:64], off, off offset:2112
	scratch_load_b128 v[65:68], off, off offset:2128
	scratch_load_b128 v[69:72], off, off offset:2144
	s_waitcnt vmcnt(5)
	v_mov_b32_e32 v23, v51
	s_clause 0x7
	scratch_load_b128 v[41:44], off, off offset:2928
	scratch_load_b128 v[45:48], off, off offset:2944
	scratch_load_b128 v[49:52], off, off offset:2960
	scratch_load_b128 v[53:56], off, off offset:2976
	scratch_load_b128 v[57:60], off, off offset:2992
	scratch_load_b128 v[61:64], off, off offset:3008
	scratch_load_b128 v[65:68], off, off offset:3024
	scratch_load_b128 v[69:72], off, off offset:3040
	s_waitcnt vmcnt(3)
	v_mov_b32_e32 v24, v58
	s_clause 0x7
	scratch_load_b128 v[41:44], off, off offset:3056
	scratch_load_b128 v[45:48], off, off offset:3072
	scratch_load_b128 v[49:52], off, off offset:3088
	scratch_load_b128 v[53:56], off, off offset:3104
	scratch_load_b128 v[57:60], off, off offset:3120
	scratch_load_b128 v[61:64], off, off offset:3136
	scratch_load_b128 v[65:68], off, off offset:3152
	scratch_load_b128 v[69:72], off, off offset:3168
	s_waitcnt vmcnt(4)
	v_mov_b32_e32 v25, v56
	s_clause 0x7
	scratch_load_b128 v[41:44], off, off offset:1136
	scratch_load_b128 v[45:48], off, off offset:1152
	scratch_load_b128 v[49:52], off, off offset:1168
	scratch_load_b128 v[53:56], off, off offset:1184
	scratch_load_b128 v[57:60], off, off offset:1200
	scratch_load_b128 v[61:64], off, off offset:1216
	scratch_load_b128 v[65:68], off, off offset:1232
	scratch_load_b128 v[69:72], off, off offset:1248
	s_waitcnt vmcnt(4)
	v_mov_b32_e32 v26, v54
	s_clause 0x7
	scratch_load_b128 v[41:44], off, off offset:1264
	scratch_load_b128 v[45:48], off, off offset:1280
	scratch_load_b128 v[49:52], off, off offset:1296
	scratch_load_b128 v[53:56], off, off offset:1312
	scratch_load_b128 v[57:60], off, off offset:1328
	scratch_load_b128 v[61:64], off, off offset:1344
	scratch_load_b128 v[65:68], off, off offset:1360
	scratch_load_b128 v[69:72], off, off offset:1376
	s_waitcnt vmcnt(5)
	v_mov_b32_e32 v27, v52
	s_clause 0x7
	scratch_load_b128 v[41:44], off, off offset:3184
	scratch_load_b128 v[45:48], off, off offset:3200
	scratch_load_b128 v[49:52], off, off offset:3216
	scratch_load_b128 v[53:56], off, off offset:3232
	scratch_load_b128 v[57:60], off, off offset:3248
	scratch_load_b128 v[61:64], off, off offset:3264
	scratch_load_b128 v[65:68], off, off offset:3280
	scratch_load_b128 v[69:72], off, off offset:3296
	s_waitcnt vmcnt(3)
	v_mov_b32_e32 v28, v57
	s_clause 0x7
	scratch_load_b128 v[41:44], off, off offset:3312
	scratch_load_b128 v[45:48], off, off offset:3328
	scratch_load_b128 v[49:52], off, off offset:3344
	scratch_load_b128 v[53:56], off, off offset:3360
	scratch_load_b128 v[57:60], off, off offset:3376
	scratch_load_b128 v[61:64], off, off offset:3392
	scratch_load_b128 v[65:68], off, off offset:3408
	scratch_load_b128 v[69:72], off, off offset:3424
	s_waitcnt vmcnt(4)
	v_mov_b32_e32 v29, v55
	s_clause 0x7
	scratch_load_b128 v[41:44], off, off offset:3440
	scratch_load_b128 v[45:48], off, off offset:3456
	scratch_load_b128 v[49:52], off, off offset:3472
	scratch_load_b128 v[53:56], off, off offset:3488
	scratch_load_b128 v[57:60], off, off offset:3504
	scratch_load_b128 v[61:64], off, off offset:3520
	scratch_load_b128 v[65:68], off, off offset:3536
	scratch_load_b128 v[69:72], off, off offset:3552
	s_waitcnt vmcnt(4)
	v_mov_b32_e32 v30, v53
	s_clause 0x7
	scratch_load_b128 v[41:44], off, off offset:3568
	scratch_load_b128 v[45:48], off, off offset:3584
	scratch_load_b128 v[49:52], off, off offset:3600
	scratch_load_b128 v[53:56], off, off offset:3616
	scratch_load_b128 v[57:60], off, off offset:3632
	scratch_load_b128 v[61:64], off, off offset:3648
	scratch_load_b128 v[65:68], off, off offset:3664
	scratch_load_b128 v[69:72], off, off offset:3680
	s_waitcnt vmcnt(5)
	v_mov_b32_e32 v31, v51
	s_clause 0x7
	scratch_load_b128 v[41:44], off, off offset:3696
	scratch_load_b128 v[45:48], off, off offset:3712
	scratch_load_b128 v[49:52], off, off offset:3728
	scratch_load_b128 v[53:56], off, off offset:3744
	scratch_load_b128 v[57:60], off, off offset:3760
	scratch_load_b128 v[61:64], off, off offset:3776
	scratch_load_b128 v[65:68], off, off offset:3792
	scratch_load_b128 v[69:72], off, off offset:3808
	s_waitcnt vmcnt(3)
	v_mov_b32_e32 v32, v58
	s_clause 0x7
	scratch_load_b128 v[41:44], off, off offset:3824
	scratch_load_b128 v[45:48], off, off offset:3840
	scratch_load_b128 v[49:52], off, off offset:3856
	scratch_load_b128 v[53:56], off, off offset:3872
	scratch_load_b128 v[57:60], off, off offset:3888
	scratch_load_b128 v[61:64], off, off offset:3904
	scratch_load_b128 v[65:68], off, off offset:3920
	scratch_load_b128 v[69:72], off, off offset:3936
	s_waitcnt vmcnt(3)
	v_mov_b32_e32 v33, v57
.LBB2_121:                              ; =>This Inner Loop Header: Depth=1
	v_cmp_eq_u32_e32 vcc_lo, 1, v11
	v_cmp_eq_u32_e64 s0, 2, v11
	v_cmp_eq_u32_e64 s1, 3, v11
	v_cmp_eq_u32_e64 s2, 4, v11
	v_cmp_eq_u32_e64 s3, 5, v11
	v_cmp_eq_u32_e64 s4, 6, v11
	v_cmp_eq_u32_e64 s5, 7, v11
	v_cmp_eq_u32_e64 s6, 8, v11
	v_cmp_eq_u32_e64 s7, 0, v11
	v_lshl_add_u32 v11, v11, 2, 16
	v_dual_cndmask_b32 v12, v249, v247 :: v_dual_cndmask_b32 v13, v248, v246
	v_cndmask_b32_e32 v15, v244, v240, vcc_lo
	scratch_load_b32 v11, v11, off
	v_cndmask_b32_e64 v12, v12, v109, s0
	v_cndmask_b32_e64 v13, v13, v108, s0
	;; [unrolled: 1-line block ×3, first 2 shown]
	s_delay_alu instid0(VALU_DEP_3) | instskip(NEXT) | instid1(VALU_DEP_3)
	v_cndmask_b32_e64 v12, v12, v7, s1
	v_cndmask_b32_e64 v13, v13, v6, s1
	s_delay_alu instid0(VALU_DEP_3) | instskip(NEXT) | instid1(VALU_DEP_3)
	v_cndmask_b32_e64 v15, v15, v39, s1
	v_cndmask_b32_e64 v12, v12, v83, s2
	;; [unrolled: 3-line block ×8, first 2 shown]
	s_delay_alu instid0(VALU_DEP_3) | instskip(SKIP_1) | instid1(VALU_DEP_2)
	v_cndmask_b32_e64 v12, v14, v33, s6
	v_cndmask_b32_e32 v14, v245, v241, vcc_lo
	v_add_f64 v[12:13], -v[12:13], 1.0
	s_delay_alu instid0(VALU_DEP_2) | instskip(NEXT) | instid1(VALU_DEP_1)
	v_cndmask_b32_e64 v14, v14, v251, s0
	v_cndmask_b32_e64 v14, v14, v40, s1
	s_delay_alu instid0(VALU_DEP_1) | instskip(NEXT) | instid1(VALU_DEP_1)
	v_cndmask_b32_e64 v14, v14, v203, s2
	v_cndmask_b32_e64 v14, v14, v27, s3
	s_delay_alu instid0(VALU_DEP_1) | instskip(NEXT) | instid1(VALU_DEP_1)
	v_cndmask_b32_e64 v14, v14, v26, s4
	v_cndmask_b32_e64 v14, v14, v25, s5
	s_delay_alu instid0(VALU_DEP_1) | instskip(SKIP_1) | instid1(VALU_DEP_1)
	v_cndmask_b32_e64 v15, v14, v24, s6
	v_cndmask_b32_e64 v14, v18, v28, s6
	v_add_f64 v[12:13], v[12:13], -v[14:15]
	s_delay_alu instid0(VALU_DEP_1)
	v_dual_cndmask_b32 v243, v243, v13 :: v_dual_cndmask_b32 v242, v242, v12
	v_cndmask_b32_e64 v17, v17, v13, s6
	v_cndmask_b32_e64 v20, v20, v12, s6
	;; [unrolled: 1-line block ×16, first 2 shown]
	s_waitcnt vmcnt(0)
	v_cmp_gt_i32_e32 vcc_lo, 0, v11
	s_or_b32 s9, vcc_lo, s9
	s_delay_alu instid0(SALU_CYCLE_1)
	s_and_not1_b32 exec_lo, exec_lo, s9
	s_cbranch_execnz .LBB2_121
; %bb.122:
	s_or_b32 exec_lo, exec_lo, s9
	s_clause 0x1f
	scratch_store_b128 off, v[13:16], off offset:2032
	scratch_store_b128 off, v[17:20], off offset:2048
	;; [unrolled: 1-line block ×32, first 2 shown]
	s_clause 0x17
	scratch_store_b128 off, v[8:11], off offset:1008
	scratch_store_b128 off, v[12:15], off offset:1024
	;; [unrolled: 1-line block ×24, first 2 shown]
.LBB2_123:
	s_or_b32 exec_lo, exec_lo, s8
	s_delay_alu instid0(SALU_CYCLE_1)
	s_mov_b32 s7, exec_lo
	v_cmpx_lt_i32_e32 -1, v10
	s_cbranch_execz .LBB2_129
; %bb.124:
	v_lshl_add_u32 v11, v10, 2, 16
	s_mov_b32 s8, exec_lo
	scratch_load_b32 v18, v11, off
	s_waitcnt vmcnt(0)
	v_lshl_add_u32 v11, v18, 2, 16
	scratch_load_b32 v34, v11, off
	s_waitcnt vmcnt(0)
	v_cmpx_lt_i32_e32 -1, v34
	s_cbranch_execz .LBB2_128
; %bb.125:
	s_clause 0x7
	scratch_load_b128 v[41:44], off, off offset:3696
	scratch_load_b128 v[45:48], off, off offset:3712
	;; [unrolled: 1-line block ×8, first 2 shown]
	v_cmp_eq_u32_e32 vcc_lo, 1, v10
	v_cmp_eq_u32_e64 s0, 2, v10
	v_cmp_eq_u32_e64 s1, 3, v10
	;; [unrolled: 1-line block ×4, first 2 shown]
	v_dual_cndmask_b32 v12, v245, v241 :: v_dual_cndmask_b32 v13, v244, v240
	v_cmp_eq_u32_e64 s4, 6, v10
	v_cmp_eq_u32_e64 s5, 7, v10
	;; [unrolled: 1-line block ×3, first 2 shown]
	s_delay_alu instid0(VALU_DEP_4) | instskip(SKIP_3) | instid1(VALU_DEP_3)
	v_cndmask_b32_e64 v12, v12, v251, s0
	v_cndmask_b32_e64 v13, v13, v250, s0
	v_dual_cndmask_b32 v11, v249, v247 :: v_dual_cndmask_b32 v10, v248, v246
	s_mov_b32 s9, 0
	v_cndmask_b32_e64 v12, v12, v40, s1
	s_delay_alu instid0(VALU_DEP_3) | instskip(NEXT) | instid1(VALU_DEP_3)
	v_cndmask_b32_e64 v13, v13, v39, s1
	v_cndmask_b32_e64 v11, v11, v109, s0
	;; [unrolled: 1-line block ×3, first 2 shown]
	s_delay_alu instid0(VALU_DEP_4) | instskip(NEXT) | instid1(VALU_DEP_4)
	v_cndmask_b32_e64 v12, v12, v203, s2
	v_cndmask_b32_e64 v13, v13, v202, s2
	s_delay_alu instid0(VALU_DEP_4) | instskip(NEXT) | instid1(VALU_DEP_4)
	v_cndmask_b32_e64 v11, v11, v111, s1
	v_cndmask_b32_e64 v10, v10, v110, s1
	s_delay_alu instid0(VALU_DEP_2) | instskip(NEXT) | instid1(VALU_DEP_2)
	v_cndmask_b32_e64 v11, v11, v83, s2
	v_cndmask_b32_e64 v10, v10, v82, s2
	s_delay_alu instid0(VALU_DEP_2) | instskip(NEXT) | instid1(VALU_DEP_2)
	;; [unrolled: 3-line block ×4, first 2 shown]
	v_cndmask_b32_e64 v11, v11, v89, s5
	v_cndmask_b32_e64 v10, v10, v94, s5
	s_waitcnt vmcnt(3)
	v_mov_b32_e32 v88, v58
	s_clause 0x7
	scratch_load_b128 v[41:44], off, off offset:3824
	scratch_load_b128 v[45:48], off, off offset:3840
	;; [unrolled: 1-line block ×8, first 2 shown]
	s_waitcnt vmcnt(3)
	v_mov_b32_e32 v95, v57
	s_clause 0x7
	scratch_load_b128 v[41:44], off, off offset:1264
	scratch_load_b128 v[45:48], off, off offset:1280
	;; [unrolled: 1-line block ×8, first 2 shown]
	v_cndmask_b32_e64 v11, v11, v88, s6
	v_cndmask_b32_e64 v10, v10, v95, s6
	s_waitcnt vmcnt(5)
	v_mov_b32_e32 v81, v52
	s_clause 0x7
	scratch_load_b128 v[41:44], off, off offset:3568
	scratch_load_b128 v[45:48], off, off offset:3584
	scratch_load_b128 v[49:52], off, off offset:3600
	scratch_load_b128 v[53:56], off, off offset:3616
	scratch_load_b128 v[57:60], off, off offset:3632
	scratch_load_b128 v[61:64], off, off offset:3648
	scratch_load_b128 v[65:68], off, off offset:3664
	scratch_load_b128 v[69:72], off, off offset:3680
	s_waitcnt vmcnt(5)
	v_mov_b32_e32 v87, v51
	s_clause 0x7
	scratch_load_b128 v[41:44], off, off offset:1136
	scratch_load_b128 v[45:48], off, off offset:1152
	scratch_load_b128 v[49:52], off, off offset:1168
	scratch_load_b128 v[53:56], off, off offset:1184
	scratch_load_b128 v[57:60], off, off offset:1200
	scratch_load_b128 v[61:64], off, off offset:1216
	scratch_load_b128 v[65:68], off, off offset:1232
	scratch_load_b128 v[69:72], off, off offset:1248
	;; [unrolled: 11-line block ×4, first 2 shown]
	v_cndmask_b32_e64 v12, v12, v81, s3
	s_waitcnt vmcnt(4)
	v_mov_b32_e32 v78, v56
	s_clause 0x7
	scratch_load_b128 v[41:44], off, off offset:3312
	scratch_load_b128 v[45:48], off, off offset:3328
	;; [unrolled: 1-line block ×8, first 2 shown]
	v_cndmask_b32_e64 v13, v13, v87, s3
	s_delay_alu instid0(VALU_DEP_1)
	v_cndmask_b32_e64 v13, v13, v86, s4
	s_waitcnt vmcnt(4)
	v_mov_b32_e32 v85, v55
	s_clause 0x7
	scratch_load_b128 v[41:44], off, off offset:2928
	scratch_load_b128 v[45:48], off, off offset:2944
	;; [unrolled: 1-line block ×8, first 2 shown]
	v_cndmask_b32_e64 v14, v13, v85, s5
	s_waitcnt vmcnt(3)
	v_mov_b32_e32 v77, v58
	s_clause 0x7
	scratch_load_b128 v[41:44], off, off offset:3184
	scratch_load_b128 v[45:48], off, off offset:3200
	;; [unrolled: 1-line block ×8, first 2 shown]
	s_waitcnt vmcnt(3)
	v_mov_b32_e32 v84, v57
	s_clause 0x7
	scratch_load_b128 v[41:44], off, off offset:1008
	scratch_load_b128 v[45:48], off, off offset:1024
	;; [unrolled: 1-line block ×8, first 2 shown]
	v_cndmask_b32_e64 v12, v12, v79, s4
	s_delay_alu instid0(VALU_DEP_1)
	v_cndmask_b32_e64 v12, v12, v78, s5
	s_waitcnt vmcnt(5)
	v_mov_b32_e32 v73, v52
	s_clause 0x7
	scratch_load_b128 v[41:44], off, off offset:2032
	scratch_load_b128 v[45:48], off, off offset:2048
	;; [unrolled: 1-line block ×8, first 2 shown]
	s_waitcnt vmcnt(5)
	v_mov_b32_e32 v76, v51
	s_clause 0x7
	scratch_load_b128 v[41:44], off, off offset:1904
	scratch_load_b128 v[45:48], off, off offset:1920
	scratch_load_b128 v[49:52], off, off offset:1936
	scratch_load_b128 v[53:56], off, off offset:1952
	scratch_load_b128 v[57:60], off, off offset:1968
	scratch_load_b128 v[61:64], off, off offset:1984
	scratch_load_b128 v[65:68], off, off offset:2000
	scratch_load_b128 v[69:72], off, off offset:2016
	v_cndmask_b32_e64 v13, v12, v77, s6
	v_cndmask_b32_e64 v12, v14, v84, s6
	v_cndmask_b32_e32 v14, v253, v243, vcc_lo
	s_delay_alu instid0(VALU_DEP_1) | instskip(NEXT) | instid1(VALU_DEP_1)
	v_cndmask_b32_e64 v14, v14, v229, s0
	v_cndmask_b32_e64 v14, v14, v117, s1
	s_delay_alu instid0(VALU_DEP_1)
	v_cndmask_b32_e64 v14, v14, v127, s2
	s_waitcnt vmcnt(4)
	v_mov_b32_e32 v75, v53
	s_clause 0x7
	scratch_load_b128 v[41:44], off, off offset:1520
	scratch_load_b128 v[45:48], off, off offset:1536
	;; [unrolled: 1-line block ×8, first 2 shown]
	s_waitcnt vmcnt(4)
	v_mov_b32_e32 v16, v56
	s_clause 0x7
	scratch_load_b128 v[41:44], off, off offset:1776
	scratch_load_b128 v[45:48], off, off offset:1792
	;; [unrolled: 1-line block ×8, first 2 shown]
	v_cndmask_b32_e32 v15, v252, v242, vcc_lo
	v_cmp_eq_u32_e32 vcc_lo, 1, v18
	v_cndmask_b32_e32 v20, v249, v247, vcc_lo
	v_cndmask_b32_e64 v14, v14, v73, s3
	v_cndmask_b32_e32 v21, v248, v246, vcc_lo
	s_delay_alu instid0(VALU_DEP_2) | instskip(NEXT) | instid1(VALU_DEP_1)
	v_cndmask_b32_e64 v14, v14, v80, s4
	v_cndmask_b32_e64 v14, v14, v16, s5
	s_waitcnt vmcnt(4)
	v_mov_b32_e32 v74, v55
	s_clause 0x7
	scratch_load_b128 v[41:44], off, off offset:1392
	scratch_load_b128 v[45:48], off, off offset:1408
	;; [unrolled: 1-line block ×8, first 2 shown]
	v_cndmask_b32_e64 v15, v15, v228, s0
	v_cmp_eq_u32_e64 s0, 2, v18
	s_delay_alu instid0(VALU_DEP_2) | instskip(SKIP_1) | instid1(VALU_DEP_3)
	v_cndmask_b32_e64 v15, v15, v116, s1
	v_cmp_eq_u32_e64 s1, 3, v18
	v_cndmask_b32_e64 v20, v20, v109, s0
	s_delay_alu instid0(VALU_DEP_3) | instskip(SKIP_1) | instid1(VALU_DEP_3)
	v_cndmask_b32_e64 v15, v15, v126, s2
	v_cmp_eq_u32_e64 s2, 4, v18
	v_cndmask_b32_e64 v20, v20, v111, s1
	s_delay_alu instid0(VALU_DEP_3) | instskip(SKIP_1) | instid1(VALU_DEP_3)
	;; [unrolled: 4-line block ×4, first 2 shown]
	v_cndmask_b32_e64 v19, v15, v74, s5
	v_cmp_eq_u32_e64 s5, 7, v18
	v_cndmask_b32_e64 v20, v20, v90, s4
	s_delay_alu instid0(VALU_DEP_1)
	v_cndmask_b32_e64 v20, v20, v89, s5
	s_waitcnt vmcnt(3)
	v_mov_b32_e32 v17, v58
	s_clause 0x7
	scratch_load_b128 v[41:44], off, off offset:1648
	scratch_load_b128 v[45:48], off, off offset:1664
	;; [unrolled: 1-line block ×8, first 2 shown]
	v_cndmask_b32_e64 v15, v14, v17, s6
	s_waitcnt vmcnt(1)
	v_mov_b32_e32 v67, v57
	s_delay_alu instid0(VALU_DEP_1) | instskip(SKIP_2) | instid1(VALU_DEP_3)
	v_cndmask_b32_e64 v14, v19, v67, s6
	v_cmp_eq_u32_e64 s6, 8, v18
	v_dual_cndmask_b32 v18, v244, v240 :: v_dual_cndmask_b32 v19, v245, v241
	v_mul_f64 v[22:23], v[12:13], v[14:15]
	s_delay_alu instid0(VALU_DEP_3)
	v_cndmask_b32_e64 v27, v20, v88, s6
	v_cndmask_b32_e32 v20, v253, v243, vcc_lo
	v_cndmask_b32_e64 v21, v21, v108, s0
	v_cndmask_b32_e64 v19, v19, v251, s0
	;; [unrolled: 1-line block ×3, first 2 shown]
	v_mul_f64 v[24:25], v[14:15], v[14:15]
	v_cndmask_b32_e64 v20, v20, v229, s0
	v_cndmask_b32_e64 v21, v21, v110, s1
	;; [unrolled: 1-line block ×4, first 2 shown]
	s_delay_alu instid0(VALU_DEP_4) | instskip(NEXT) | instid1(VALU_DEP_4)
	v_cndmask_b32_e64 v20, v20, v117, s1
	v_cndmask_b32_e64 v21, v21, v82, s2
	s_delay_alu instid0(VALU_DEP_4) | instskip(NEXT) | instid1(VALU_DEP_4)
	v_cndmask_b32_e64 v19, v19, v203, s2
	v_cndmask_b32_e64 v18, v18, v202, s2
	;; [unrolled: 3-line block ×9, first 2 shown]
	v_cndmask_b32_e32 v21, v252, v242, vcc_lo
	v_cndmask_b32_e64 v19, v19, v77, s6
	v_cndmask_b32_e64 v18, v18, v84, s6
	;; [unrolled: 1-line block ×3, first 2 shown]
	v_add_f64 v[30:31], v[26:27], -v[10:11]
	v_cndmask_b32_e64 v21, v21, v228, s0
	s_delay_alu instid0(VALU_DEP_4) | instskip(NEXT) | instid1(VALU_DEP_2)
	v_add_f64 v[32:33], v[18:19], -v[12:13]
	v_cndmask_b32_e64 v21, v21, v116, s1
	s_delay_alu instid0(VALU_DEP_1) | instskip(NEXT) | instid1(VALU_DEP_1)
	v_cndmask_b32_e64 v21, v21, v126, s2
	v_cndmask_b32_e64 v21, v21, v76, s3
	s_delay_alu instid0(VALU_DEP_1) | instskip(NEXT) | instid1(VALU_DEP_1)
	v_cndmask_b32_e64 v21, v21, v75, s4
	v_cndmask_b32_e64 v21, v21, v74, s5
	s_delay_alu instid0(VALU_DEP_1)
	v_cndmask_b32_e64 v28, v21, v67, s6
	v_mul_f64 v[20:21], v[10:11], v[14:15]
.LBB2_126:                              ; =>This Inner Loop Header: Depth=1
	v_cmp_eq_u32_e32 vcc_lo, 1, v34
	v_cmp_eq_u32_e64 s0, 2, v34
	v_cmp_eq_u32_e64 s1, 3, v34
	;; [unrolled: 1-line block ×4, first 2 shown]
	v_dual_cndmask_b32 v35, v249, v247 :: v_dual_cndmask_b32 v36, v248, v246
	v_cmp_eq_u32_e64 s4, 6, v34
	v_cmp_eq_u32_e64 s5, 7, v34
	;; [unrolled: 1-line block ×3, first 2 shown]
	s_delay_alu instid0(VALU_DEP_4)
	v_cndmask_b32_e64 v35, v35, v109, s0
	v_cndmask_b32_e64 v36, v36, v108, s0
	s_waitcnt vmcnt(5)
	v_fma_f64 v[45:46], v[28:29], v[28:29], v[24:25]
	s_waitcnt vmcnt(4)
	v_add_f64 v[47:48], v[14:15], v[28:29]
	v_cndmask_b32_e32 v38, v244, v240, vcc_lo
	v_cndmask_b32_e64 v35, v35, v111, s1
	v_cndmask_b32_e64 v36, v36, v110, s1
	s_delay_alu instid0(VALU_DEP_3) | instskip(NEXT) | instid1(VALU_DEP_3)
	v_cndmask_b32_e64 v38, v38, v250, s0
	v_cndmask_b32_e64 v35, v35, v83, s2
	s_delay_alu instid0(VALU_DEP_3) | instskip(NEXT) | instid1(VALU_DEP_3)
	;; [unrolled: 3-line block ×7, first 2 shown]
	v_cndmask_b32_e64 v38, v38, v86, s4
	v_cndmask_b32_e64 v36, v35, v88, s6
	s_delay_alu instid0(VALU_DEP_3) | instskip(SKIP_1) | instid1(VALU_DEP_4)
	v_cndmask_b32_e64 v35, v37, v95, s6
	v_cndmask_b32_e32 v37, v245, v241, vcc_lo
	v_cndmask_b32_e64 v39, v38, v85, s5
	s_delay_alu instid0(VALU_DEP_2) | instskip(NEXT) | instid1(VALU_DEP_1)
	v_cndmask_b32_e64 v37, v37, v251, s0
	v_cndmask_b32_e64 v37, v37, v40, s1
	s_delay_alu instid0(VALU_DEP_1) | instskip(NEXT) | instid1(VALU_DEP_1)
	v_cndmask_b32_e64 v37, v37, v203, s2
	v_cndmask_b32_e64 v37, v37, v81, s3
	s_delay_alu instid0(VALU_DEP_1) | instskip(NEXT) | instid1(VALU_DEP_1)
	v_cndmask_b32_e64 v37, v37, v79, s4
	v_cndmask_b32_e64 v37, v37, v78, s5
	s_delay_alu instid0(VALU_DEP_1) | instskip(SKIP_2) | instid1(VALU_DEP_2)
	v_cndmask_b32_e64 v38, v37, v77, s6
	v_cndmask_b32_e64 v37, v39, v84, s6
	v_add_f64 v[39:40], v[35:36], -v[10:11]
	v_add_f64 v[41:42], v[37:38], -v[12:13]
	s_delay_alu instid0(VALU_DEP_2) | instskip(NEXT) | instid1(VALU_DEP_1)
	v_mul_f64 v[32:33], v[39:40], v[32:33]
	v_fma_f64 v[30:31], v[41:42], v[30:31], -v[32:33]
	v_dual_cndmask_b32 v32, v253, v243 :: v_dual_cndmask_b32 v33, v252, v242
	s_delay_alu instid0(VALU_DEP_1) | instskip(NEXT) | instid1(VALU_DEP_2)
	v_cndmask_b32_e64 v32, v32, v229, s0
	v_cndmask_b32_e64 v33, v33, v228, s0
	s_delay_alu instid0(VALU_DEP_2) | instskip(NEXT) | instid1(VALU_DEP_2)
	v_cndmask_b32_e64 v32, v32, v117, s1
	v_cndmask_b32_e64 v33, v33, v116, s1
	s_delay_alu instid0(VALU_DEP_2) | instskip(NEXT) | instid1(VALU_DEP_2)
	;; [unrolled: 3-line block ×6, first 2 shown]
	v_cndmask_b32_e64 v44, v32, v17, s6
	v_cndmask_b32_e64 v43, v33, v67, s6
	v_add_f64 v[32:33], v[10:11], v[26:27]
	v_fma_f64 v[26:27], v[26:27], v[28:29], v[20:21]
	s_delay_alu instid0(VALU_DEP_3) | instskip(SKIP_1) | instid1(VALU_DEP_4)
	v_fma_f64 v[45:46], v[43:44], v[43:44], v[45:46]
	v_add_f64 v[47:48], v[43:44], v[47:48]
	v_add_f64 v[32:33], v[32:33], v[35:36]
	s_delay_alu instid0(VALU_DEP_4) | instskip(NEXT) | instid1(VALU_DEP_4)
	v_fma_f64 v[26:27], v[43:44], v[35:36], v[26:27]
	v_fma_f64 v[45:46], v[14:15], v[28:29], v[45:46]
	s_delay_alu instid0(VALU_DEP_4) | instskip(SKIP_1) | instid1(VALU_DEP_3)
	v_fma_f64 v[124:125], v[47:48], v[30:31], v[124:125]
	v_mul_f64 v[47:48], v[47:48], v[30:31]
	v_fma_f64 v[45:46], v[14:15], v[43:44], v[45:46]
	s_delay_alu instid0(VALU_DEP_2) | instskip(NEXT) | instid1(VALU_DEP_2)
	v_mul_f64 v[32:33], v[32:33], v[47:48]
	v_fma_f64 v[45:46], v[43:44], v[28:29], v[45:46]
	v_fma_f64 v[28:29], v[18:19], v[28:29], v[22:23]
	v_add_f64 v[18:19], v[12:13], v[18:19]
	s_delay_alu instid0(VALU_DEP_4)
	v_fma_f64 v[26:27], v[26:27], v[30:31], v[32:33]
	v_dual_mov_b32 v32, v41 :: v_dual_mov_b32 v33, v42
	v_fma_f64 v[118:119], v[30:31], v[45:46], v[118:119]
	v_fma_f64 v[28:29], v[43:44], v[37:38], v[28:29]
	v_add_f64 v[18:19], v[37:38], v[18:19]
	v_add_f64 v[122:123], v[122:123], v[26:27]
	v_dual_mov_b32 v26, v35 :: v_dual_mov_b32 v27, v36
	s_delay_alu instid0(VALU_DEP_3) | instskip(NEXT) | instid1(VALU_DEP_1)
	v_mul_f64 v[18:19], v[18:19], v[47:48]
	v_fma_f64 v[18:19], v[28:29], v[30:31], v[18:19]
	v_dual_mov_b32 v30, v39 :: v_dual_mov_b32 v31, v40
	v_dual_mov_b32 v28, v43 :: v_dual_mov_b32 v29, v44
	s_delay_alu instid0(VALU_DEP_3)
	v_add_f64 v[120:121], v[120:121], v[18:19]
	v_lshl_add_u32 v18, v34, 2, 16
	scratch_load_b32 v34, v18, off
	v_dual_mov_b32 v18, v37 :: v_dual_mov_b32 v19, v38
	s_clause 0x7
	scratch_load_b128 v[35:38], off, off offset:880
	scratch_load_b128 v[39:42], off, off offset:896
	;; [unrolled: 1-line block ×8, first 2 shown]
	s_waitcnt vmcnt(8)
	v_cmp_gt_i32_e32 vcc_lo, 0, v34
	s_waitcnt vmcnt(6)
	v_dual_mov_b32 v39, v41 :: v_dual_mov_b32 v40, v42
	s_or_b32 s9, vcc_lo, s9
	s_delay_alu instid0(SALU_CYCLE_1)
	s_and_not1_b32 exec_lo, exec_lo, s9
	s_cbranch_execnz .LBB2_126
; %bb.127:
	s_or_b32 exec_lo, exec_lo, s9
.LBB2_128:
	s_delay_alu instid0(SALU_CYCLE_1)
	s_or_b32 exec_lo, exec_lo, s8
.LBB2_129:
	s_delay_alu instid0(SALU_CYCLE_1)
	s_or_b32 exec_lo, exec_lo, s7
	s_movk_i32 s2, 0x1064
	s_mov_b32 s1, 0x3fc55555
	scratch_load_b64 v[8:9], off, s2        ; 8-byte Folded Reload
	s_movk_i32 s2, 0x1074
	s_mov_b32 s0, 0x55555555
	scratch_load_b64 v[10:11], off, s2      ; 8-byte Folded Reload
	s_movk_i32 s2, 0x106c
	v_mul_f64 v[6:7], v[124:125], s[0:1]
	scratch_load_b64 v[12:13], off, s2      ; 8-byte Folded Reload
	s_mov_b32 s1, 0x3fa55555
	s_movk_i32 s2, 0x100c
	v_mul_f64 v[4:5], v[122:123], s[0:1]
	v_mul_f64 v[2:3], v[120:121], s[0:1]
	;; [unrolled: 1-line block ×3, first 2 shown]
	s_movk_i32 s0, 0x1054
	scratch_load_b64 v[33:34], off, off offset:4092 ; 8-byte Folded Reload
	s_waitcnt vmcnt(3)
	v_mul_f64 v[8:9], v[8:9], v[4:5]
	s_waitcnt vmcnt(2)
	v_mul_f64 v[10:11], v[10:11], v[4:5]
	;; [unrolled: 2-line block ×3, first 2 shown]
	scratch_load_b64 v[12:13], off, s2      ; 8-byte Folded Reload
	s_movk_i32 s2, 0x1014
	s_waitcnt vmcnt(0)
	v_fma_f64 v[8:9], v[12:13], v[6:7], v[8:9]
	scratch_load_b128 v[12:15], off, s2     ; 16-byte Folded Reload
	s_movk_i32 s2, 0x1024
	s_waitcnt vmcnt(0)
	v_fma_f64 v[10:11], v[14:15], v[6:7], v[10:11]
	scratch_load_b128 v[12:15], off, s2     ; 16-byte Folded Reload
	scratch_load_b64 v[12:13], off, s0      ; 8-byte Folded Reload
	s_movk_i32 s0, 0x1044
	s_waitcnt vmcnt(1)
	v_fma_f64 v[4:5], v[14:15], v[6:7], v[4:5]
	s_waitcnt vmcnt(0)
	v_fma_f64 v[8:9], v[12:13], v[2:3], v[8:9]
	scratch_load_b64 v[12:13], off, s0      ; 8-byte Folded Reload
	s_movk_i32 s0, 0x104c
	s_waitcnt vmcnt(0)
	v_fma_f64 v[10:11], v[12:13], v[2:3], v[10:11]
	scratch_load_b64 v[12:13], off, s0      ; 8-byte Folded Reload
	s_movk_i32 s0, 0x105c
	s_waitcnt vmcnt(0)
	v_fma_f64 v[2:3], v[12:13], v[2:3], v[4:5]
	scratch_load_b64 v[4:5], off, s0        ; 8-byte Folded Reload
	s_movk_i32 s0, 0x1034
	s_waitcnt vmcnt(0)
	v_fma_f64 v[4:5], v[4:5], v[0:1], v[8:9]
	scratch_load_b64 v[8:9], off, s0        ; 8-byte Folded Reload
	s_movk_i32 s0, 0x103c
	s_waitcnt vmcnt(0)
	v_fma_f64 v[8:9], v[8:9], v[0:1], v[10:11]
	scratch_load_b64 v[10:11], off, s0      ; 8-byte Folded Reload
	s_movk_i32 s0, 0x107c
	s_waitcnt vmcnt(0)
	v_fma_f64 v[0:1], v[10:11], v[0:1], v[2:3]
	scratch_load_b64 v[10:11], off, s0      ; 8-byte Folded Reload
	s_movk_i32 s0, 0x1004
	scratch_load_b64 v[26:27], off, s0      ; 8-byte Folded Reload
	s_waitcnt vmcnt(1)
	v_mul_f64 v[2:3], v[10:11], v[4:5]
	v_mul_f64 v[4:5], v[10:11], v[8:9]
	;; [unrolled: 1-line block ×4, first 2 shown]
	s_delay_alu instid0(VALU_DEP_4) | instskip(NEXT) | instid1(VALU_DEP_4)
	v_add_f64 v[20:21], v[2:3], 0
	v_add_f64 v[18:19], v[4:5], 0
	s_delay_alu instid0(VALU_DEP_4) | instskip(NEXT) | instid1(VALU_DEP_4)
	v_add_f64 v[16:17], v[0:1], 0
	v_add_f64 v[22:23], v[6:7], 0
.LBB2_130:
	s_or_b32 exec_lo, exec_lo, s23
	s_waitcnt vmcnt(0)
	v_mad_u64_u32 v[10:11], null, 0x48, v26, 0
	v_mov_b32_e32 v2, 0
	v_dual_mov_b32 v3, 0 :: v_dual_mov_b32 v6, v20
	v_mov_b32_e32 v7, v21
	v_dual_mov_b32 v8, v18 :: v_dual_and_b32 v33, 0xffffffc0, v33
	v_mov_b32_e32 v0, v11
	v_dual_mov_b32 v9, v19 :: v_dual_mov_b32 v12, v16
	s_delay_alu instid0(VALU_DEP_2) | instskip(SKIP_3) | instid1(VALU_DEP_4)
	v_mad_u64_u32 v[4:5], null, 0x48, v27, v[0:1]
	v_dual_mov_b32 v0, v22 :: v_dual_mov_b32 v15, v3
	v_mov_b32_e32 v1, v23
	v_dual_mov_b32 v13, v17 :: v_dual_mov_b32 v14, v2
	v_mov_b32_e32 v11, v4
	v_dual_mov_b32 v5, v3 :: v_dual_mov_b32 v4, v2
	s_delay_alu instid0(VALU_DEP_2)
	v_cmp_gt_i64_e32 vcc_lo, v[10:11], v[33:34]
	v_dual_mov_b32 v11, v3 :: v_dual_mov_b32 v10, v2
	s_and_saveexec_b32 s0, vcc_lo
; %bb.131:
	v_mov_b32_e32 v0, 0
	v_dual_mov_b32 v1, 0 :: v_dual_mov_b32 v2, v16
	v_dual_mov_b32 v3, v17 :: v_dual_mov_b32 v4, v18
	;; [unrolled: 1-line block ×3, first 2 shown]
	v_mov_b32_e32 v11, v21
	s_delay_alu instid0(VALU_DEP_4)
	v_dual_mov_b32 v7, v1 :: v_dual_mov_b32 v6, v0
	v_dual_mov_b32 v9, v1 :: v_dual_mov_b32 v8, v0
	;; [unrolled: 1-line block ×4, first 2 shown]
; %bb.132:
	s_or_b32 exec_lo, exec_lo, s0
	v_mbcnt_lo_u32_b32 v16, -1, 0
	s_mov_b64 s[0:1], 1
	s_waitcnt_vscnt null, 0x0
	s_barrier
	buffer_gl0_inv
.LBB2_133:                              ; =>This Inner Loop Header: Depth=1
	v_xor_b32_e32 v17, s0, v16
	v_cmp_gt_u64_e64 s2, s[0:1], 31
	s_lshl_b64 s[0:1], s[0:1], 1
	s_delay_alu instid0(VALU_DEP_2) | instskip(SKIP_1) | instid1(VALU_DEP_3)
	v_cmp_gt_i32_e32 vcc_lo, 32, v17
	v_cndmask_b32_e32 v17, v16, v17, vcc_lo
	s_and_b32 vcc_lo, exec_lo, s2
	s_delay_alu instid0(VALU_DEP_1)
	v_lshlrev_b32_e32 v32, 2, v17
	ds_bpermute_b32 v17, v32, v14
	ds_bpermute_b32 v18, v32, v15
	;; [unrolled: 1-line block ×16, first 2 shown]
	s_waitcnt lgkmcnt(14)
	v_add_f64 v[14:15], v[14:15], v[17:18]
	s_waitcnt lgkmcnt(12)
	v_add_f64 v[10:11], v[10:11], v[19:20]
	;; [unrolled: 2-line block ×8, first 2 shown]
	s_cbranch_vccz .LBB2_133
; %bb.134:
	scratch_load_b32 v16, off, off offset:4080 ; 4-byte Folded Reload
	s_mov_b32 s0, exec_lo
	s_waitcnt vmcnt(0)
	v_dual_mov_b32 v17, 0 :: v_dual_and_b32 v16, 63, v16
	s_delay_alu instid0(VALU_DEP_1)
	v_cmpx_eq_u64_e32 0, v[16:17]
	s_cbranch_execz .LBB2_136
; %bb.135:
	ds_store_2addr_b64 v17, v[0:1], v[6:7] offset1:2
	ds_store_2addr_b64 v17, v[8:9], v[12:13] offset0:4 offset1:6
	ds_store_2addr_b64 v17, v[14:15], v[10:11] offset0:8 offset1:10
	ds_store_2addr_b64 v17, v[4:5], v[2:3] offset0:12 offset1:14
.LBB2_136:
	s_or_b32 exec_lo, exec_lo, s0
	v_cmp_gt_u64_e32 vcc_lo, 8, v[16:17]
	s_waitcnt lgkmcnt(0)
	s_barrier
	buffer_gl0_inv
	s_and_b32 exec_lo, exec_lo, vcc_lo
	s_cbranch_execz .LBB2_138
; %bb.137:
	v_lshlrev_b32_e32 v0, 4, v16
	v_lshlrev_b32_e32 v2, 3, v16
	v_add_co_u32 v3, vcc_lo, s24, v33
	v_add_co_ci_u32_e32 v4, vcc_lo, s25, v34, vcc_lo
	ds_load_b64 v[0:1], v0
	v_add_co_u32 v2, vcc_lo, v3, v2
	v_add_co_ci_u32_e32 v3, vcc_lo, 0, v4, vcc_lo
	s_waitcnt lgkmcnt(0)
	global_store_b64 v[2:3], v[0:1], off
.LBB2_138:
	s_nop 0
	s_sendmsg sendmsg(MSG_DEALLOC_VGPRS)
	s_endpgm
	.section	.rodata,"a",@progbits
	.p2align	6, 0x0
	.amdhsa_kernel _ZN8rajaperf17lambda_hip_forallILm64EZNS_4apps12INTSC_HEXHEX17runHipVariantImplILm64EEEvNS_9VariantIDEEUllE_EEvllT0_
		.amdhsa_group_segment_fixed_size 128
		.amdhsa_private_segment_fixed_size 4240
		.amdhsa_kernarg_size 48
		.amdhsa_user_sgpr_count 15
		.amdhsa_user_sgpr_dispatch_ptr 0
		.amdhsa_user_sgpr_queue_ptr 0
		.amdhsa_user_sgpr_kernarg_segment_ptr 1
		.amdhsa_user_sgpr_dispatch_id 0
		.amdhsa_user_sgpr_private_segment_size 0
		.amdhsa_wavefront_size32 1
		.amdhsa_uses_dynamic_stack 0
		.amdhsa_enable_private_segment 1
		.amdhsa_system_sgpr_workgroup_id_x 1
		.amdhsa_system_sgpr_workgroup_id_y 0
		.amdhsa_system_sgpr_workgroup_id_z 0
		.amdhsa_system_sgpr_workgroup_info 0
		.amdhsa_system_vgpr_workitem_id 0
		.amdhsa_next_free_vgpr 256
		.amdhsa_next_free_sgpr 28
		.amdhsa_reserve_vcc 1
		.amdhsa_float_round_mode_32 0
		.amdhsa_float_round_mode_16_64 0
		.amdhsa_float_denorm_mode_32 3
		.amdhsa_float_denorm_mode_16_64 3
		.amdhsa_dx10_clamp 1
		.amdhsa_ieee_mode 1
		.amdhsa_fp16_overflow 0
		.amdhsa_workgroup_processor_mode 1
		.amdhsa_memory_ordered 1
		.amdhsa_forward_progress 0
		.amdhsa_shared_vgpr_count 0
		.amdhsa_exception_fp_ieee_invalid_op 0
		.amdhsa_exception_fp_denorm_src 0
		.amdhsa_exception_fp_ieee_div_zero 0
		.amdhsa_exception_fp_ieee_overflow 0
		.amdhsa_exception_fp_ieee_underflow 0
		.amdhsa_exception_fp_ieee_inexact 0
		.amdhsa_exception_int_div_zero 0
	.end_amdhsa_kernel
	.section	.text._ZN8rajaperf17lambda_hip_forallILm64EZNS_4apps12INTSC_HEXHEX17runHipVariantImplILm64EEEvNS_9VariantIDEEUllE_EEvllT0_,"axG",@progbits,_ZN8rajaperf17lambda_hip_forallILm64EZNS_4apps12INTSC_HEXHEX17runHipVariantImplILm64EEEvNS_9VariantIDEEUllE_EEvllT0_,comdat
.Lfunc_end2:
	.size	_ZN8rajaperf17lambda_hip_forallILm64EZNS_4apps12INTSC_HEXHEX17runHipVariantImplILm64EEEvNS_9VariantIDEEUllE_EEvllT0_, .Lfunc_end2-_ZN8rajaperf17lambda_hip_forallILm64EZNS_4apps12INTSC_HEXHEX17runHipVariantImplILm64EEEvNS_9VariantIDEEUllE_EEvllT0_
                                        ; -- End function
	.section	.AMDGPU.csdata,"",@progbits
; Kernel info:
; codeLenInByte = 76248
; NumSgprs: 30
; NumVgprs: 256
; ScratchSize: 4240
; MemoryBound: 0
; FloatMode: 240
; IeeeMode: 1
; LDSByteSize: 128 bytes/workgroup (compile time only)
; SGPRBlocks: 3
; VGPRBlocks: 31
; NumSGPRsForWavesPerEU: 30
; NumVGPRsForWavesPerEU: 256
; Occupancy: 5
; WaveLimiterHint : 0
; COMPUTE_PGM_RSRC2:SCRATCH_EN: 1
; COMPUTE_PGM_RSRC2:USER_SGPR: 15
; COMPUTE_PGM_RSRC2:TRAP_HANDLER: 0
; COMPUTE_PGM_RSRC2:TGID_X_EN: 1
; COMPUTE_PGM_RSRC2:TGID_Y_EN: 0
; COMPUTE_PGM_RSRC2:TGID_Z_EN: 0
; COMPUTE_PGM_RSRC2:TIDIG_COMP_CNT: 0
	.section	.text._ZN8rajaperf17lambda_hip_forallILm64EZNS_4apps12INTSC_HEXHEX17runHipVariantImplILm64EEEvNS_9VariantIDEEUllE0_EEvllT0_,"axG",@progbits,_ZN8rajaperf17lambda_hip_forallILm64EZNS_4apps12INTSC_HEXHEX17runHipVariantImplILm64EEEvNS_9VariantIDEEUllE0_EEvllT0_,comdat
	.protected	_ZN8rajaperf17lambda_hip_forallILm64EZNS_4apps12INTSC_HEXHEX17runHipVariantImplILm64EEEvNS_9VariantIDEEUllE0_EEvllT0_ ; -- Begin function _ZN8rajaperf17lambda_hip_forallILm64EZNS_4apps12INTSC_HEXHEX17runHipVariantImplILm64EEEvNS_9VariantIDEEUllE0_EEvllT0_
	.globl	_ZN8rajaperf17lambda_hip_forallILm64EZNS_4apps12INTSC_HEXHEX17runHipVariantImplILm64EEEvNS_9VariantIDEEUllE0_EEvllT0_
	.p2align	8
	.type	_ZN8rajaperf17lambda_hip_forallILm64EZNS_4apps12INTSC_HEXHEX17runHipVariantImplILm64EEEvNS_9VariantIDEEUllE0_EEvllT0_,@function
_ZN8rajaperf17lambda_hip_forallILm64EZNS_4apps12INTSC_HEXHEX17runHipVariantImplILm64EEEvNS_9VariantIDEEUllE0_EEvllT0_: ; @_ZN8rajaperf17lambda_hip_forallILm64EZNS_4apps12INTSC_HEXHEX17runHipVariantImplILm64EEEvNS_9VariantIDEEUllE0_EEvllT0_
; %bb.0:
	s_load_b128 s[4:7], s[0:1], 0x0
	s_mov_b32 s2, s15
	s_mov_b32 s3, 0
	s_delay_alu instid0(SALU_CYCLE_1) | instskip(SKIP_4) | instid1(VALU_DEP_1)
	s_lshl_b64 s[2:3], s[2:3], 6
	s_waitcnt lgkmcnt(0)
	s_add_u32 s2, s2, s4
	s_addc_u32 s3, s3, s5
	v_add_co_u32 v2, s2, s2, v0
	v_add_co_ci_u32_e64 v3, null, s3, 0, s2
	s_mov_b32 s2, exec_lo
	s_delay_alu instid0(VALU_DEP_1)
	v_cmpx_gt_i64_e64 s[6:7], v[2:3]
	s_cbranch_execz .LBB3_17
; %bb.1:
	s_clause 0x1
	s_load_b128 s[4:7], s[0:1], 0x10
	s_load_b64 s[0:1], s[0:1], 0x20
	v_lshlrev_b64 v[6:7], 8, v[2:3]
	v_lshlrev_b64 v[4:5], 3, v[2:3]
	s_mov_b32 s2, exec_lo
	s_waitcnt lgkmcnt(0)
	v_mad_u64_u32 v[0:1], null, 0x240, v2, s[6:7]
	s_delay_alu instid0(VALU_DEP_1) | instskip(SKIP_2) | instid1(VALU_DEP_3)
	v_mad_u64_u32 v[8:9], null, 0x240, v3, v[1:2]
	v_add_co_u32 v2, vcc_lo, s4, v6
	v_add_co_ci_u32_e32 v3, vcc_lo, s5, v7, vcc_lo
	v_mov_b32_e32 v1, v8
	v_cmpx_gt_u64_e64 s[0:1], v[4:5]
	s_cbranch_execz .LBB3_3
; %bb.2:
	s_clause 0x1
	global_load_b64 v[6:7], v[0:1], off
	global_load_b64 v[8:9], v[0:1], off offset:64
	s_waitcnt vmcnt(0)
	v_add_f64 v[6:7], v[6:7], v[8:9]
	global_store_b64 v[2:3], v[6:7], off
	s_clause 0x1
	global_load_b64 v[6:7], v[0:1], off offset:8
	global_load_b64 v[8:9], v[0:1], off offset:72
	s_waitcnt vmcnt(0)
	v_add_f64 v[6:7], v[6:7], v[8:9]
	global_store_b64 v[2:3], v[6:7], off offset:8
	s_clause 0x1
	global_load_b64 v[6:7], v[0:1], off offset:16
	global_load_b64 v[8:9], v[0:1], off offset:80
	s_waitcnt vmcnt(0)
	v_add_f64 v[6:7], v[6:7], v[8:9]
	global_store_b64 v[2:3], v[6:7], off offset:16
	;; [unrolled: 6-line block ×3, first 2 shown]
.LBB3_3:
	s_or_b32 exec_lo, exec_lo, s2
	v_or_b32_e32 v6, 1, v4
	v_mov_b32_e32 v7, v5
	s_mov_b32 s2, exec_lo
	s_delay_alu instid0(VALU_DEP_1)
	v_cmpx_gt_u64_e64 s[0:1], v[6:7]
	s_cbranch_execz .LBB3_5
; %bb.4:
	s_clause 0x1
	global_load_b64 v[6:7], v[0:1], off offset:96
	global_load_b64 v[8:9], v[0:1], off offset:128
	s_waitcnt vmcnt(0)
	v_add_f64 v[6:7], v[6:7], v[8:9]
	global_store_b64 v[2:3], v[6:7], off offset:32
	s_clause 0x1
	global_load_b64 v[6:7], v[0:1], off offset:104
	global_load_b64 v[8:9], v[0:1], off offset:136
	s_waitcnt vmcnt(0)
	v_add_f64 v[6:7], v[6:7], v[8:9]
	global_store_b64 v[2:3], v[6:7], off offset:40
	s_clause 0x1
	global_load_b64 v[6:7], v[0:1], off offset:112
	global_load_b64 v[8:9], v[0:1], off offset:144
	s_waitcnt vmcnt(0)
	v_add_f64 v[6:7], v[6:7], v[8:9]
	global_store_b64 v[2:3], v[6:7], off offset:48
	s_clause 0x1
	global_load_b64 v[6:7], v[0:1], off offset:120
	global_load_b64 v[8:9], v[0:1], off offset:152
	s_waitcnt vmcnt(0)
	v_add_f64 v[6:7], v[6:7], v[8:9]
	global_store_b64 v[2:3], v[6:7], off offset:56
.LBB3_5:
	s_or_b32 exec_lo, exec_lo, s2
	v_or_b32_e32 v6, 2, v4
	v_mov_b32_e32 v7, v5
	s_mov_b32 s2, exec_lo
	s_delay_alu instid0(VALU_DEP_1)
	v_cmpx_gt_u64_e64 s[0:1], v[6:7]
	s_cbranch_execz .LBB3_7
; %bb.6:
	s_clause 0x1
	global_load_b64 v[6:7], v[0:1], off offset:160
	global_load_b64 v[8:9], v[0:1], off offset:192
	s_waitcnt vmcnt(0)
	v_add_f64 v[6:7], v[6:7], v[8:9]
	global_store_b64 v[2:3], v[6:7], off offset:64
	s_clause 0x1
	global_load_b64 v[6:7], v[0:1], off offset:168
	global_load_b64 v[8:9], v[0:1], off offset:200
	s_waitcnt vmcnt(0)
	v_add_f64 v[6:7], v[6:7], v[8:9]
	global_store_b64 v[2:3], v[6:7], off offset:72
	s_clause 0x1
	global_load_b64 v[6:7], v[0:1], off offset:176
	global_load_b64 v[8:9], v[0:1], off offset:208
	s_waitcnt vmcnt(0)
	v_add_f64 v[6:7], v[6:7], v[8:9]
	global_store_b64 v[2:3], v[6:7], off offset:80
	s_clause 0x1
	global_load_b64 v[6:7], v[0:1], off offset:184
	global_load_b64 v[8:9], v[0:1], off offset:216
	s_waitcnt vmcnt(0)
	v_add_f64 v[6:7], v[6:7], v[8:9]
	global_store_b64 v[2:3], v[6:7], off offset:88
.LBB3_7:
	;; [unrolled: 33-line block ×6, first 2 shown]
	s_or_b32 exec_lo, exec_lo, s2
	v_or_b32_e32 v4, 7, v4
	s_delay_alu instid0(VALU_DEP_1)
	v_cmp_gt_u64_e32 vcc_lo, s[0:1], v[4:5]
	s_and_b32 exec_lo, exec_lo, vcc_lo
	s_cbranch_execz .LBB3_17
; %bb.16:
	s_clause 0x1
	global_load_b64 v[4:5], v[0:1], off offset:480
	global_load_b64 v[6:7], v[0:1], off offset:512
	s_waitcnt vmcnt(0)
	v_add_f64 v[4:5], v[4:5], v[6:7]
	global_store_b64 v[2:3], v[4:5], off offset:224
	s_clause 0x1
	global_load_b64 v[4:5], v[0:1], off offset:488
	global_load_b64 v[6:7], v[0:1], off offset:520
	s_waitcnt vmcnt(0)
	v_add_f64 v[4:5], v[4:5], v[6:7]
	global_store_b64 v[2:3], v[4:5], off offset:232
	;; [unrolled: 6-line block ×4, first 2 shown]
.LBB3_17:
	s_nop 0
	s_sendmsg sendmsg(MSG_DEALLOC_VGPRS)
	s_endpgm
	.section	.rodata,"a",@progbits
	.p2align	6, 0x0
	.amdhsa_kernel _ZN8rajaperf17lambda_hip_forallILm64EZNS_4apps12INTSC_HEXHEX17runHipVariantImplILm64EEEvNS_9VariantIDEEUllE0_EEvllT0_
		.amdhsa_group_segment_fixed_size 0
		.amdhsa_private_segment_fixed_size 0
		.amdhsa_kernarg_size 40
		.amdhsa_user_sgpr_count 15
		.amdhsa_user_sgpr_dispatch_ptr 0
		.amdhsa_user_sgpr_queue_ptr 0
		.amdhsa_user_sgpr_kernarg_segment_ptr 1
		.amdhsa_user_sgpr_dispatch_id 0
		.amdhsa_user_sgpr_private_segment_size 0
		.amdhsa_wavefront_size32 1
		.amdhsa_uses_dynamic_stack 0
		.amdhsa_enable_private_segment 0
		.amdhsa_system_sgpr_workgroup_id_x 1
		.amdhsa_system_sgpr_workgroup_id_y 0
		.amdhsa_system_sgpr_workgroup_id_z 0
		.amdhsa_system_sgpr_workgroup_info 0
		.amdhsa_system_vgpr_workitem_id 0
		.amdhsa_next_free_vgpr 10
		.amdhsa_next_free_sgpr 16
		.amdhsa_reserve_vcc 1
		.amdhsa_float_round_mode_32 0
		.amdhsa_float_round_mode_16_64 0
		.amdhsa_float_denorm_mode_32 3
		.amdhsa_float_denorm_mode_16_64 3
		.amdhsa_dx10_clamp 1
		.amdhsa_ieee_mode 1
		.amdhsa_fp16_overflow 0
		.amdhsa_workgroup_processor_mode 1
		.amdhsa_memory_ordered 1
		.amdhsa_forward_progress 0
		.amdhsa_shared_vgpr_count 0
		.amdhsa_exception_fp_ieee_invalid_op 0
		.amdhsa_exception_fp_denorm_src 0
		.amdhsa_exception_fp_ieee_div_zero 0
		.amdhsa_exception_fp_ieee_overflow 0
		.amdhsa_exception_fp_ieee_underflow 0
		.amdhsa_exception_fp_ieee_inexact 0
		.amdhsa_exception_int_div_zero 0
	.end_amdhsa_kernel
	.section	.text._ZN8rajaperf17lambda_hip_forallILm64EZNS_4apps12INTSC_HEXHEX17runHipVariantImplILm64EEEvNS_9VariantIDEEUllE0_EEvllT0_,"axG",@progbits,_ZN8rajaperf17lambda_hip_forallILm64EZNS_4apps12INTSC_HEXHEX17runHipVariantImplILm64EEEvNS_9VariantIDEEUllE0_EEvllT0_,comdat
.Lfunc_end3:
	.size	_ZN8rajaperf17lambda_hip_forallILm64EZNS_4apps12INTSC_HEXHEX17runHipVariantImplILm64EEEvNS_9VariantIDEEUllE0_EEvllT0_, .Lfunc_end3-_ZN8rajaperf17lambda_hip_forallILm64EZNS_4apps12INTSC_HEXHEX17runHipVariantImplILm64EEEvNS_9VariantIDEEUllE0_EEvllT0_
                                        ; -- End function
	.section	.AMDGPU.csdata,"",@progbits
; Kernel info:
; codeLenInByte = 1680
; NumSgprs: 18
; NumVgprs: 10
; ScratchSize: 0
; MemoryBound: 1
; FloatMode: 240
; IeeeMode: 1
; LDSByteSize: 0 bytes/workgroup (compile time only)
; SGPRBlocks: 2
; VGPRBlocks: 1
; NumSGPRsForWavesPerEU: 18
; NumVGPRsForWavesPerEU: 10
; Occupancy: 16
; WaveLimiterHint : 1
; COMPUTE_PGM_RSRC2:SCRATCH_EN: 0
; COMPUTE_PGM_RSRC2:USER_SGPR: 15
; COMPUTE_PGM_RSRC2:TRAP_HANDLER: 0
; COMPUTE_PGM_RSRC2:TGID_X_EN: 1
; COMPUTE_PGM_RSRC2:TGID_Y_EN: 0
; COMPUTE_PGM_RSRC2:TGID_Z_EN: 0
; COMPUTE_PGM_RSRC2:TIDIG_COMP_CNT: 0
	.section	.text._ZN4RAJA6policy3hip4impl18forallp_hip_kernelINS1_8hip_execINS_17iteration_mapping6DirectENS_3hip11IndexGlobalILNS_9named_dimE0ELi64ELi0EEENS7_40AvoidDeviceMaxThreadOccupancyConcretizerINS7_34FractionOffsetOccupancyConcretizerINS_8FractionImLm1ELm1EEELln1EEEEELb1EEENS_9Iterators16numeric_iteratorIllPlEEZN8rajaperf4apps12INTSC_HEXHEX17runHipVariantImplILm64EEEvNSM_9VariantIDEEUllE1_lNS_4expt15ForallParamPackIJEEES6_SA_TnNSt9enable_ifIXaasr3std10is_base_ofINS5_10DirectBaseET4_EE5valuegtsrT5_10block_sizeLi0EEmE4typeELm64EEEvT1_T0_T2_T3_,"axG",@progbits,_ZN4RAJA6policy3hip4impl18forallp_hip_kernelINS1_8hip_execINS_17iteration_mapping6DirectENS_3hip11IndexGlobalILNS_9named_dimE0ELi64ELi0EEENS7_40AvoidDeviceMaxThreadOccupancyConcretizerINS7_34FractionOffsetOccupancyConcretizerINS_8FractionImLm1ELm1EEELln1EEEEELb1EEENS_9Iterators16numeric_iteratorIllPlEEZN8rajaperf4apps12INTSC_HEXHEX17runHipVariantImplILm64EEEvNSM_9VariantIDEEUllE1_lNS_4expt15ForallParamPackIJEEES6_SA_TnNSt9enable_ifIXaasr3std10is_base_ofINS5_10DirectBaseET4_EE5valuegtsrT5_10block_sizeLi0EEmE4typeELm64EEEvT1_T0_T2_T3_,comdat
	.protected	_ZN4RAJA6policy3hip4impl18forallp_hip_kernelINS1_8hip_execINS_17iteration_mapping6DirectENS_3hip11IndexGlobalILNS_9named_dimE0ELi64ELi0EEENS7_40AvoidDeviceMaxThreadOccupancyConcretizerINS7_34FractionOffsetOccupancyConcretizerINS_8FractionImLm1ELm1EEELln1EEEEELb1EEENS_9Iterators16numeric_iteratorIllPlEEZN8rajaperf4apps12INTSC_HEXHEX17runHipVariantImplILm64EEEvNSM_9VariantIDEEUllE1_lNS_4expt15ForallParamPackIJEEES6_SA_TnNSt9enable_ifIXaasr3std10is_base_ofINS5_10DirectBaseET4_EE5valuegtsrT5_10block_sizeLi0EEmE4typeELm64EEEvT1_T0_T2_T3_ ; -- Begin function _ZN4RAJA6policy3hip4impl18forallp_hip_kernelINS1_8hip_execINS_17iteration_mapping6DirectENS_3hip11IndexGlobalILNS_9named_dimE0ELi64ELi0EEENS7_40AvoidDeviceMaxThreadOccupancyConcretizerINS7_34FractionOffsetOccupancyConcretizerINS_8FractionImLm1ELm1EEELln1EEEEELb1EEENS_9Iterators16numeric_iteratorIllPlEEZN8rajaperf4apps12INTSC_HEXHEX17runHipVariantImplILm64EEEvNSM_9VariantIDEEUllE1_lNS_4expt15ForallParamPackIJEEES6_SA_TnNSt9enable_ifIXaasr3std10is_base_ofINS5_10DirectBaseET4_EE5valuegtsrT5_10block_sizeLi0EEmE4typeELm64EEEvT1_T0_T2_T3_
	.globl	_ZN4RAJA6policy3hip4impl18forallp_hip_kernelINS1_8hip_execINS_17iteration_mapping6DirectENS_3hip11IndexGlobalILNS_9named_dimE0ELi64ELi0EEENS7_40AvoidDeviceMaxThreadOccupancyConcretizerINS7_34FractionOffsetOccupancyConcretizerINS_8FractionImLm1ELm1EEELln1EEEEELb1EEENS_9Iterators16numeric_iteratorIllPlEEZN8rajaperf4apps12INTSC_HEXHEX17runHipVariantImplILm64EEEvNSM_9VariantIDEEUllE1_lNS_4expt15ForallParamPackIJEEES6_SA_TnNSt9enable_ifIXaasr3std10is_base_ofINS5_10DirectBaseET4_EE5valuegtsrT5_10block_sizeLi0EEmE4typeELm64EEEvT1_T0_T2_T3_
	.p2align	8
	.type	_ZN4RAJA6policy3hip4impl18forallp_hip_kernelINS1_8hip_execINS_17iteration_mapping6DirectENS_3hip11IndexGlobalILNS_9named_dimE0ELi64ELi0EEENS7_40AvoidDeviceMaxThreadOccupancyConcretizerINS7_34FractionOffsetOccupancyConcretizerINS_8FractionImLm1ELm1EEELln1EEEEELb1EEENS_9Iterators16numeric_iteratorIllPlEEZN8rajaperf4apps12INTSC_HEXHEX17runHipVariantImplILm64EEEvNSM_9VariantIDEEUllE1_lNS_4expt15ForallParamPackIJEEES6_SA_TnNSt9enable_ifIXaasr3std10is_base_ofINS5_10DirectBaseET4_EE5valuegtsrT5_10block_sizeLi0EEmE4typeELm64EEEvT1_T0_T2_T3_,@function
_ZN4RAJA6policy3hip4impl18forallp_hip_kernelINS1_8hip_execINS_17iteration_mapping6DirectENS_3hip11IndexGlobalILNS_9named_dimE0ELi64ELi0EEENS7_40AvoidDeviceMaxThreadOccupancyConcretizerINS7_34FractionOffsetOccupancyConcretizerINS_8FractionImLm1ELm1EEELln1EEEEELb1EEENS_9Iterators16numeric_iteratorIllPlEEZN8rajaperf4apps12INTSC_HEXHEX17runHipVariantImplILm64EEEvNSM_9VariantIDEEUllE1_lNS_4expt15ForallParamPackIJEEES6_SA_TnNSt9enable_ifIXaasr3std10is_base_ofINS5_10DirectBaseET4_EE5valuegtsrT5_10block_sizeLi0EEmE4typeELm64EEEvT1_T0_T2_T3_: ; @_ZN4RAJA6policy3hip4impl18forallp_hip_kernelINS1_8hip_execINS_17iteration_mapping6DirectENS_3hip11IndexGlobalILNS_9named_dimE0ELi64ELi0EEENS7_40AvoidDeviceMaxThreadOccupancyConcretizerINS7_34FractionOffsetOccupancyConcretizerINS_8FractionImLm1ELm1EEELln1EEEEELb1EEENS_9Iterators16numeric_iteratorIllPlEEZN8rajaperf4apps12INTSC_HEXHEX17runHipVariantImplILm64EEEvNSM_9VariantIDEEUllE1_lNS_4expt15ForallParamPackIJEEES6_SA_TnNSt9enable_ifIXaasr3std10is_base_ofINS5_10DirectBaseET4_EE5valuegtsrT5_10block_sizeLi0EEmE4typeELm64EEEvT1_T0_T2_T3_
; %bb.0:
	s_load_b256 s[4:11], s[0:1], 0x10
	s_mov_b32 s2, s15
	s_mov_b32 s3, 0
	s_delay_alu instid0(SALU_CYCLE_1) | instskip(NEXT) | instid1(SALU_CYCLE_1)
	s_lshl_b64 s[2:3], s[2:3], 6
	v_or_b32_e32 v0, s2, v0
	v_mov_b32_e32 v1, s3
	s_mov_b32 s2, exec_lo
	s_waitcnt lgkmcnt(0)
	s_delay_alu instid0(VALU_DEP_1)
	v_cmpx_gt_i64_e64 s[10:11], v[0:1]
	s_cbranch_execz .LBB4_138
; %bb.1:
	s_add_u32 s2, 0, 0x8e389f80
	s_addc_u32 s3, 0, 15
	v_add_co_u32 v35, vcc_lo, v0, s8
	s_add_i32 s3, s3, 0x38e38d4
	v_add_co_ci_u32_e32 v14, vcc_lo, s9, v1, vcc_lo
	s_mul_hi_u32 s8, s2, 0xffffffb8
	s_mul_i32 s9, s3, 0xffffffb8
	s_mul_i32 s10, s2, 0xffffffb8
	s_add_i32 s8, s8, s9
	s_mul_hi_u32 s9, s3, s10
	s_sub_i32 s8, s8, s2
	s_mul_i32 s11, s3, s10
	s_mul_i32 s12, s2, s8
	s_mul_hi_u32 s10, s2, s10
	v_ashrrev_i32_e32 v0, 31, v14
	s_mul_hi_u32 s13, s2, s8
	s_add_u32 s10, s10, s12
	s_addc_u32 s12, 0, s13
	s_mul_hi_u32 s13, s3, s8
	s_add_u32 s10, s10, s11
	s_addc_u32 s9, s12, s9
	s_mul_i32 s8, s3, s8
	v_add_co_u32 v1, vcc_lo, v35, v0
	s_addc_u32 s10, s13, 0
	s_add_u32 s8, s9, s8
	s_addc_u32 s9, 0, s10
	v_add_co_u32 v7, s2, s2, s8
	v_add_co_ci_u32_e32 v2, vcc_lo, v14, v0, vcc_lo
	v_xor_b32_e32 v1, v1, v0
	s_cmp_lg_u32 s2, 0
	s_load_b128 s[24:27], s[0:1], 0x0
	s_addc_u32 s2, s3, s9
	v_xor_b32_e32 v2, v2, v0
	v_mad_u64_u32 v[3:4], null, v1, s2, 0
	v_mul_hi_u32 v8, v1, v7
	s_mov_b32 s23, exec_lo
	s_delay_alu instid0(VALU_DEP_3) | instskip(SKIP_2) | instid1(VALU_DEP_4)
	v_mad_u64_u32 v[5:6], null, v2, v7, 0
	v_mov_b32_e32 v18, 0
	v_mov_b32_e32 v19, 0
	v_add_co_u32 v7, vcc_lo, v8, v3
	v_add_co_ci_u32_e32 v8, vcc_lo, 0, v4, vcc_lo
	v_mad_u64_u32 v[3:4], null, v2, s2, 0
	s_delay_alu instid0(VALU_DEP_3) | instskip(NEXT) | instid1(VALU_DEP_3)
	v_add_co_u32 v5, vcc_lo, v7, v5
	v_add_co_ci_u32_e32 v5, vcc_lo, v8, v6, vcc_lo
	v_dual_mov_b32 v21, v19 :: v_dual_mov_b32 v20, v18
	s_delay_alu instid0(VALU_DEP_4) | instskip(NEXT) | instid1(VALU_DEP_3)
	v_add_co_ci_u32_e32 v4, vcc_lo, 0, v4, vcc_lo
	v_add_co_u32 v7, vcc_lo, v5, v3
	v_dual_mov_b32 v23, v19 :: v_dual_mov_b32 v22, v18
	s_delay_alu instid0(VALU_DEP_3) | instskip(NEXT) | instid1(VALU_DEP_3)
	v_add_co_ci_u32_e32 v8, vcc_lo, 0, v4, vcc_lo
	v_mad_u64_u32 v[3:4], null, 0x48, v7, 0
	v_dual_mov_b32 v25, v19 :: v_dual_mov_b32 v24, v18
	s_delay_alu instid0(VALU_DEP_2) | instskip(NEXT) | instid1(VALU_DEP_3)
	v_mad_u64_u32 v[5:6], null, 0x48, v8, v[4:5]
	v_sub_co_u32 v3, vcc_lo, v1, v3
	s_delay_alu instid0(VALU_DEP_2) | instskip(NEXT) | instid1(VALU_DEP_2)
	v_sub_co_ci_u32_e32 v4, vcc_lo, v2, v5, vcc_lo
	v_subrev_co_u32 v5, vcc_lo, 0x48, v3
	s_delay_alu instid0(VALU_DEP_2) | instskip(NEXT) | instid1(VALU_DEP_2)
	v_subrev_co_ci_u32_e32 v6, vcc_lo, 0, v4, vcc_lo
	v_cmp_lt_u32_e32 vcc_lo, 0x47, v5
	v_cmp_eq_u32_e64 s2, 0, v4
	v_cndmask_b32_e64 v5, 0, -1, vcc_lo
	v_add_co_u32 v9, vcc_lo, v7, 2
	v_add_co_ci_u32_e32 v10, vcc_lo, 0, v8, vcc_lo
	v_cmp_lt_u32_e32 vcc_lo, 0x47, v3
	v_cndmask_b32_e64 v3, 0, -1, vcc_lo
	v_cmp_eq_u32_e32 vcc_lo, 0, v6
	s_delay_alu instid0(VALU_DEP_2) | instskip(SKIP_3) | instid1(VALU_DEP_3)
	v_cndmask_b32_e64 v3, -1, v3, s2
	v_cndmask_b32_e32 v5, -1, v5, vcc_lo
	v_add_co_u32 v6, vcc_lo, v7, 1
	v_add_co_ci_u32_e32 v11, vcc_lo, 0, v8, vcc_lo
	v_cmp_ne_u32_e32 vcc_lo, 0, v5
	s_delay_alu instid0(VALU_DEP_2) | instskip(SKIP_1) | instid1(VALU_DEP_2)
	v_dual_cndmask_b32 v4, v11, v10 :: v_dual_cndmask_b32 v5, v6, v9
	v_cmp_ne_u32_e32 vcc_lo, 0, v3
	v_dual_cndmask_b32 v3, v8, v4 :: v_dual_cndmask_b32 v4, v7, v5
	s_delay_alu instid0(VALU_DEP_1) | instskip(NEXT) | instid1(VALU_DEP_2)
	v_xor_b32_e32 v3, v3, v0
	v_xor_b32_e32 v4, v4, v0
	s_delay_alu instid0(VALU_DEP_1) | instskip(NEXT) | instid1(VALU_DEP_3)
	v_sub_co_u32 v26, vcc_lo, v4, v0
	v_sub_co_ci_u32_e32 v27, vcc_lo, v3, v0, vcc_lo
	s_waitcnt lgkmcnt(0)
	s_delay_alu instid0(VALU_DEP_1)
	v_cmpx_gt_u64_e64 s[26:27], v[26:27]
	s_cbranch_execz .LBB4_130
; %bb.2:
	v_mad_u64_u32 v[3:4], null, 0x2aaaaaaa, v1, 0
	v_mul_hi_u32 v9, 0xaaaaaaaa, v1
	v_mad_u64_u32 v[5:6], null, 0xaaaaaaaa, v2, 0
	v_mad_u64_u32 v[7:8], null, 0x2aaaaaaa, v2, 0
	s_add_u32 s1, 0, 0x55540000
	s_addc_u32 s2, 0, 0x55
	s_mul_hi_u32 s8, s1, -12
	s_delay_alu instid0(VALU_DEP_3) | instskip(SKIP_2) | instid1(VALU_DEP_2)
	v_add_co_u32 v3, vcc_lo, v9, v3
	v_add_co_ci_u32_e32 v4, vcc_lo, 0, v4, vcc_lo
	s_mul_i32 s3, s1, -12
	v_add_co_u32 v3, vcc_lo, v3, v5
	s_delay_alu instid0(VALU_DEP_2) | instskip(SKIP_1) | instid1(VALU_DEP_2)
	v_add_co_ci_u32_e32 v3, vcc_lo, v4, v6, vcc_lo
	v_add_co_ci_u32_e32 v4, vcc_lo, 0, v8, vcc_lo
	v_add_co_u32 v7, vcc_lo, v3, v7
	s_delay_alu instid0(VALU_DEP_2) | instskip(NEXT) | instid1(VALU_DEP_2)
	v_add_co_ci_u32_e32 v8, vcc_lo, 0, v4, vcc_lo
	v_mad_u64_u32 v[3:4], null, v7, 6, 0
	s_delay_alu instid0(VALU_DEP_1) | instskip(NEXT) | instid1(VALU_DEP_2)
	v_mad_u64_u32 v[5:6], null, v8, 6, v[4:5]
	v_sub_co_u32 v1, vcc_lo, v1, v3
	s_delay_alu instid0(VALU_DEP_2) | instskip(NEXT) | instid1(VALU_DEP_2)
	v_sub_co_ci_u32_e32 v2, vcc_lo, v2, v5, vcc_lo
	v_sub_co_u32 v3, vcc_lo, v1, 6
	s_delay_alu instid0(VALU_DEP_2) | instskip(NEXT) | instid1(VALU_DEP_2)
	v_subrev_co_ci_u32_e32 v4, vcc_lo, 0, v2, vcc_lo
	v_cmp_lt_u32_e32 vcc_lo, 5, v3
	v_cmp_eq_u32_e64 s0, 0, v2
	v_cndmask_b32_e64 v3, 0, -1, vcc_lo
	v_add_co_u32 v5, vcc_lo, v7, 2
	v_add_co_ci_u32_e32 v6, vcc_lo, 0, v8, vcc_lo
	v_cmp_lt_u32_e32 vcc_lo, 5, v1
	v_cndmask_b32_e64 v1, 0, -1, vcc_lo
	v_cmp_eq_u32_e32 vcc_lo, 0, v4
	s_delay_alu instid0(VALU_DEP_2) | instskip(SKIP_3) | instid1(VALU_DEP_3)
	v_cndmask_b32_e64 v1, -1, v1, s0
	v_cndmask_b32_e32 v3, -1, v3, vcc_lo
	v_add_co_u32 v4, vcc_lo, v7, 1
	v_add_co_ci_u32_e32 v9, vcc_lo, 0, v8, vcc_lo
	v_cmp_ne_u32_e32 vcc_lo, 0, v3
	s_or_b32 s0, s2, 0x15555500
	s_mul_hi_u32 s2, s1, s3
	s_mul_i32 s9, s0, -12
	s_mul_hi_u32 s10, s0, s3
	v_dual_cndmask_b32 v2, v9, v6 :: v_dual_cndmask_b32 v3, v4, v5
	v_cmp_ne_u32_e32 vcc_lo, 0, v1
	s_add_i32 s8, s8, s9
	s_mul_i32 s3, s0, s3
	s_sub_i32 s8, s8, s1
	v_dual_cndmask_b32 v1, v8, v2 :: v_dual_cndmask_b32 v2, v7, v3
	s_mul_i32 s11, s1, s8
	s_mul_hi_u32 s9, s1, s8
	s_add_u32 s2, s2, s11
	s_delay_alu instid0(VALU_DEP_1)
	v_xor_b32_e32 v1, v1, v0
	v_xor_b32_e32 v2, v2, v0
	s_addc_u32 s9, 0, s9
	s_mul_hi_u32 s12, s0, s8
	s_add_u32 s2, s2, s3
	s_mul_i32 s8, s0, s8
	v_sub_co_u32 v9, vcc_lo, v2, v0
	v_sub_co_ci_u32_e32 v8, vcc_lo, v1, v0, vcc_lo
	s_addc_u32 s2, s9, s10
	s_addc_u32 s3, s12, 0
	s_add_u32 s2, s2, s8
	s_delay_alu instid0(VALU_DEP_1) | instskip(SKIP_3) | instid1(VALU_DEP_2)
	v_ashrrev_i32_e32 v7, 31, v8
	v_add_co_u32 v4, s1, s1, s2
	s_addc_u32 s3, 0, s3
	s_cmp_lg_u32 s1, 0
	v_add_co_u32 v0, vcc_lo, v9, v7
	v_add_co_ci_u32_e32 v1, vcc_lo, v8, v7, vcc_lo
	s_addc_u32 s0, s0, s3
	s_delay_alu instid0(VALU_DEP_2) | instskip(SKIP_1) | instid1(VALU_DEP_2)
	v_xor_b32_e32 v6, v0, v7
	s_mov_b32 s2, exec_lo
	v_xor_b32_e32 v10, v1, v7
	s_delay_alu instid0(VALU_DEP_2) | instskip(SKIP_1) | instid1(VALU_DEP_3)
	v_mad_u64_u32 v[0:1], null, v6, s0, 0
	v_mul_hi_u32 v11, v6, v4
	v_mad_u64_u32 v[2:3], null, v10, v4, 0
	v_mad_u64_u32 v[4:5], null, v10, s0, 0
	s_delay_alu instid0(VALU_DEP_3) | instskip(SKIP_1) | instid1(VALU_DEP_2)
	v_add_co_u32 v0, vcc_lo, v11, v0
	v_add_co_ci_u32_e32 v1, vcc_lo, 0, v1, vcc_lo
	v_add_co_u32 v0, vcc_lo, v0, v2
	s_delay_alu instid0(VALU_DEP_2) | instskip(SKIP_1) | instid1(VALU_DEP_2)
	v_add_co_ci_u32_e32 v0, vcc_lo, v1, v3, vcc_lo
	v_add_co_ci_u32_e32 v1, vcc_lo, 0, v5, vcc_lo
	v_add_co_u32 v2, vcc_lo, v0, v4
	s_delay_alu instid0(VALU_DEP_2) | instskip(NEXT) | instid1(VALU_DEP_2)
	v_add_co_ci_u32_e32 v4, vcc_lo, 0, v1, vcc_lo
	v_mad_u64_u32 v[0:1], null, v2, 12, 0
	s_delay_alu instid0(VALU_DEP_1) | instskip(NEXT) | instid1(VALU_DEP_2)
	v_mad_u64_u32 v[2:3], null, v4, 12, v[1:2]
	v_sub_co_u32 v0, vcc_lo, v6, v0
	s_delay_alu instid0(VALU_DEP_2) | instskip(NEXT) | instid1(VALU_DEP_2)
	v_sub_co_ci_u32_e32 v1, vcc_lo, v10, v2, vcc_lo
	v_sub_co_u32 v2, vcc_lo, v0, 12
	s_delay_alu instid0(VALU_DEP_2) | instskip(NEXT) | instid1(VALU_DEP_2)
	v_subrev_co_ci_u32_e32 v3, vcc_lo, 0, v1, vcc_lo
	v_cmp_lt_u32_e32 vcc_lo, 11, v2
	v_cmp_eq_u32_e64 s0, 0, v1
	v_cndmask_b32_e64 v4, 0, -1, vcc_lo
	v_cmp_lt_u32_e32 vcc_lo, 11, v0
	v_cndmask_b32_e64 v5, 0, -1, vcc_lo
	v_cmp_eq_u32_e32 vcc_lo, 0, v3
	s_delay_alu instid0(VALU_DEP_4) | instskip(SKIP_2) | instid1(VALU_DEP_3)
	v_cndmask_b32_e32 v4, -1, v4, vcc_lo
	v_sub_co_u32 v6, vcc_lo, v2, 12
	v_subrev_co_ci_u32_e32 v10, vcc_lo, 0, v3, vcc_lo
	v_cmp_ne_u32_e32 vcc_lo, 0, v4
	v_cndmask_b32_e64 v4, -1, v5, s0
                                        ; implicit-def: $sgpr0_sgpr1
	s_delay_alu instid0(VALU_DEP_3) | instskip(SKIP_1) | instid1(VALU_DEP_3)
	v_cndmask_b32_e32 v3, v3, v10, vcc_lo
	v_cndmask_b32_e32 v2, v2, v6, vcc_lo
	v_cmp_ne_u32_e32 vcc_lo, 0, v4
	s_delay_alu instid0(VALU_DEP_2) | instskip(NEXT) | instid1(VALU_DEP_1)
	v_dual_cndmask_b32 v1, v1, v3 :: v_dual_cndmask_b32 v0, v0, v2
                                        ; implicit-def: $vgpr2_vgpr3
	v_xor_b32_e32 v1, v1, v7
	s_delay_alu instid0(VALU_DEP_2) | instskip(NEXT) | instid1(VALU_DEP_1)
	v_xor_b32_e32 v0, v0, v7
	v_sub_co_u32 v6, vcc_lo, v0, v7
	s_delay_alu instid0(VALU_DEP_3) | instskip(NEXT) | instid1(VALU_DEP_1)
	v_sub_co_ci_u32_e32 v7, vcc_lo, v1, v7, vcc_lo
                                        ; implicit-def: $vgpr0_vgpr1
	v_cmpx_lt_i64_e32 5, v[6:7]
	s_xor_b32 s2, exec_lo, s2
; %bb.3:
	v_sub_co_u32 v2, vcc_lo, 12, v6
	v_sub_co_ci_u32_e32 v3, vcc_lo, 0, v7, vcc_lo
	v_sub_co_u32 v0, vcc_lo, 11, v6
	v_sub_co_ci_u32_e32 v1, vcc_lo, 0, v7, vcc_lo
	s_mov_b64 s[0:1], 7
                                        ; implicit-def: $vgpr6
; %bb.4:
	s_or_saveexec_b32 s2, s2
	v_dual_mov_b32 v5, s1 :: v_dual_mov_b32 v4, s0
	s_xor_b32 exec_lo, exec_lo, s2
; %bb.5:
	v_add_co_u32 v0, vcc_lo, v6, 1
	v_mov_b32_e32 v4, 0
	v_dual_mov_b32 v5, 0 :: v_dual_mov_b32 v2, v6
	v_add_co_ci_u32_e32 v1, vcc_lo, 0, v7, vcc_lo
	v_mov_b32_e32 v3, v7
; %bb.6:
	s_or_b32 exec_lo, exec_lo, s2
	v_mad_u64_u32 v[6:7], null, v9, 6, 0
	s_movk_i32 s0, 0x1108
	v_mul_lo_u32 v21, 0xc0, v27
	scratch_store_b32 off, v35, s0          ; 4-byte Folded Spill
	s_movk_i32 s0, 0x110c
	v_lshlrev_b64 v[2:3], 2, v[2:3]
	scratch_store_b32 off, v14, s0          ; 4-byte Folded Spill
	v_mad_u64_u32 v[9:10], null, v8, 6, v[7:8]
	v_sub_co_u32 v6, vcc_lo, v35, v6
	s_getpc_b64 s[0:1]
	s_add_u32 s0, s0, __const._ZN8rajaperf14hex_intsc_subzEPKdS1_iiRdS2_S2_S2_.vert_cyc@rel32@lo+4
	s_addc_u32 s1, s1, __const._ZN8rajaperf14hex_intsc_subzEPKdS1_iiRdS2_S2_S2_.vert_cyc@rel32@hi+12
	v_lshlrev_b64 v[0:1], 2, v[0:1]
	v_lshlrev_b64 v[4:5], 3, v[4:5]
	v_add_nc_u16 v8, v6, 1
	v_mov_b32_e32 v7, v9
	v_add_nc_u32_e64 v99, 16, 40
	v_mov_b32_e32 v245, 1
                                        ; implicit-def: $sgpr15
	v_mov_b32_e32 v246, 2
	v_bfe_i32 v9, v8, 0, 8
	v_sub_co_ci_u32_e32 v7, vcc_lo, v14, v7, vcc_lo
	v_mov_b32_e32 v248, 4
	s_delay_alu instid0(VALU_DEP_3) | instskip(NEXT) | instid1(VALU_DEP_3)
	v_mul_lo_u16 v9, v9, 43
	v_lshlrev_b64 v[6:7], 2, v[6:7]
	s_delay_alu instid0(VALU_DEP_2) | instskip(SKIP_1) | instid1(VALU_DEP_3)
	v_lshrrev_b16 v10, 15, v9
	v_lshrrev_b16 v9, 8, v9
	v_add_co_u32 v6, vcc_lo, v6, s0
	s_delay_alu instid0(VALU_DEP_4) | instskip(SKIP_3) | instid1(VALU_DEP_2)
	v_add_co_ci_u32_e32 v7, vcc_lo, s1, v7, vcc_lo
	global_load_b32 v6, v[6:7], off
	v_add_nc_u16 v7, v9, v10
	v_mad_u64_u32 v[10:11], null, 0xc0, v26, s[6:7]
	v_mul_lo_u16 v7, v7, 6
	s_delay_alu instid0(VALU_DEP_2) | instskip(NEXT) | instid1(VALU_DEP_2)
	v_add_nc_u32_e32 v11, v21, v11
	v_sub_nc_u16 v7, v8, v7
	s_delay_alu instid0(VALU_DEP_1) | instskip(NEXT) | instid1(VALU_DEP_1)
	v_bfe_i32 v7, v7, 0, 8
	v_ashrrev_i32_e32 v8, 31, v7
	s_delay_alu instid0(VALU_DEP_1) | instskip(NEXT) | instid1(VALU_DEP_1)
	v_lshlrev_b64 v[7:8], 2, v[7:8]
	v_add_co_u32 v7, vcc_lo, v7, s0
	s_delay_alu instid0(VALU_DEP_2)
	v_add_co_ci_u32_e32 v8, vcc_lo, s1, v8, vcc_lo
	s_getpc_b64 s[0:1]
	s_add_u32 s0, s0, __const._ZN8rajaperf14hex_intsc_subzEPKdS1_iiRdS2_S2_S2_.cyc_nod@rel32@lo+4
	s_addc_u32 s1, s1, __const._ZN8rajaperf14hex_intsc_subzEPKdS1_iiRdS2_S2_S2_.cyc_nod@rel32@hi+12
	global_load_b32 v8, v[7:8], off
	s_waitcnt vmcnt(1)
	v_ashrrev_i32_e32 v7, 31, v6
	s_delay_alu instid0(VALU_DEP_1) | instskip(NEXT) | instid1(VALU_DEP_1)
	v_lshlrev_b64 v[6:7], 3, v[6:7]
	v_add_co_u32 v6, vcc_lo, v10, v6
	s_delay_alu instid0(VALU_DEP_2)
	v_add_co_ci_u32_e32 v7, vcc_lo, v11, v7, vcc_lo
	s_clause 0x3
	global_load_b64 v[54:55], v[10:11], off
	global_load_b128 v[44:47], v[10:11], off offset:56
	global_load_b128 v[56:59], v[10:11], off offset:120
	global_load_b64 v[12:13], v[6:7], off
	s_waitcnt vmcnt(4)
	v_ashrrev_i32_e32 v9, 31, v8
	s_delay_alu instid0(VALU_DEP_1) | instskip(NEXT) | instid1(VALU_DEP_1)
	v_lshlrev_b64 v[8:9], 3, v[8:9]
	v_add_co_u32 v8, vcc_lo, v10, v8
	s_delay_alu instid0(VALU_DEP_2)
	v_add_co_ci_u32_e32 v9, vcc_lo, v11, v9, vcc_lo
	s_clause 0x5
	global_load_b64 v[14:15], v[8:9], off offset:64
	global_load_b64 v[16:17], v[8:9], off offset:128
	;; [unrolled: 1-line block ×3, first 2 shown]
	global_load_b64 v[8:9], v[8:9], off
	global_load_b64 v[18:19], v[6:7], off offset:64
	global_load_b64 v[6:7], v[6:7], off offset:128
	v_add_co_u32 v2, vcc_lo, v2, s0
	v_add_co_ci_u32_e32 v3, vcc_lo, s1, v3, vcc_lo
	v_add_co_u32 v0, vcc_lo, v0, s0
	v_add_co_ci_u32_e32 v1, vcc_lo, s1, v1, vcc_lo
	s_clause 0x1
	global_load_b32 v20, v[2:3], off
	global_load_b32 v22, v[0:1], off
	s_movk_i32 s0, 0x1110
	scratch_store_b64 off, v[26:27], s0     ; 8-byte Folded Spill
	s_mov_b32 s0, 0xe48e0530
	s_mov_b32 s1, 0x2b2bff2e
	s_waitcnt vmcnt(10)
	v_add_f64 v[66:67], v[44:45], -v[54:55]
	s_waitcnt vmcnt(9)
	v_add_f64 v[56:57], v[56:57], -v[46:47]
	;; [unrolled: 2-line block ×4, first 2 shown]
	s_delay_alu instid0(VALU_DEP_2)
	v_mul_f64 v[24:25], v[68:69], v[56:57]
	s_waitcnt vmcnt(6)
	v_add_f64 v[62:63], v[16:17], -v[58:59]
	s_waitcnt vmcnt(5)
	v_add_f64 v[50:51], v[10:11], -v[58:59]
	;; [unrolled: 2-line block ×5, first 2 shown]
	v_mad_u64_u32 v[10:11], null, 0xc0, v26, s[4:5]
	s_mov_b32 s4, 0
	s_delay_alu instid0(VALU_DEP_1) | instskip(NEXT) | instid1(VALU_DEP_2)
	v_add_nc_u32_e32 v15, v21, v11
	v_add_co_u32 v4, vcc_lo, v10, v4
	s_waitcnt vmcnt(1)
	v_ashrrev_i32_e32 v21, 31, v20
	s_waitcnt vmcnt(0)
	v_ashrrev_i32_e32 v23, 31, v22
	v_add_co_ci_u32_e32 v5, vcc_lo, v15, v5, vcc_lo
	s_delay_alu instid0(VALU_DEP_2)
	v_lshlrev_b64 v[13:14], 3, v[22:23]
	global_load_b64 v[11:12], v[4:5], off offset:64
	v_mul_f64 v[0:1], v[68:69], v[60:61]
	v_mul_f64 v[26:27], v[60:61], v[66:67]
	;; [unrolled: 1-line block ×4, first 2 shown]
	v_fma_f64 v[24:25], v[72:73], v[66:67], -v[24:25]
	s_delay_alu instid0(VALU_DEP_3) | instskip(SKIP_1) | instid1(VALU_DEP_2)
	v_fma_f64 v[8:9], v[0:1], v[50:51], -v[2:3]
	v_mul_f64 v[2:3], v[72:73], v[64:65]
	v_fma_f64 v[6:7], v[70:71], v[6:7], v[8:9]
	v_mul_f64 v[8:9], v[72:73], v[66:67]
	s_delay_alu instid0(VALU_DEP_2) | instskip(NEXT) | instid1(VALU_DEP_1)
	v_fma_f64 v[6:7], -v[2:3], v[50:51], v[6:7]
	v_fma_f64 v[6:7], v[62:63], v[8:9], v[6:7]
	v_lshlrev_b64 v[8:9], 3, v[20:21]
	s_delay_alu instid0(VALU_DEP_1) | instskip(NEXT) | instid1(VALU_DEP_2)
	v_add_co_u32 v8, vcc_lo, v10, v8
	v_add_co_ci_u32_e32 v9, vcc_lo, v15, v9, vcc_lo
	v_add_co_u32 v13, vcc_lo, v10, v13
	v_add_co_ci_u32_e32 v14, vcc_lo, v15, v14, vcc_lo
	s_clause 0x7
	global_load_b64 v[15:16], v[8:9], off offset:64
	global_load_b64 v[17:18], v[13:14], off offset:64
	;; [unrolled: 1-line block ×3, first 2 shown]
	global_load_b64 v[4:5], v[4:5], off
	global_load_b64 v[19:20], v[8:9], off
	;; [unrolled: 1-line block ×3, first 2 shown]
	global_load_b64 v[32:33], v[8:9], off offset:128
	global_load_b64 v[34:35], v[13:14], off offset:128
	v_mul_f64 v[13:14], v[64:65], v[50:51]
	v_fma_f64 v[74:75], -v[70:71], v[26:27], v[6:7]
	v_fma_f64 v[26:27], v[64:65], v[56:57], -v[26:27]
	s_delay_alu instid0(VALU_DEP_3) | instskip(NEXT) | instid1(VALU_DEP_3)
	v_fma_f64 v[42:43], v[62:63], v[66:67], -v[13:14]
	v_fma_f64 v[30:31], v[74:75], v[74:75], s[0:1]
	s_movk_i32 s0, 0x1120
	s_delay_alu instid0(VALU_DEP_1) | instskip(SKIP_1) | instid1(VALU_DEP_2)
	v_div_scale_f64 v[36:37], null, v[30:31], v[30:31], v[74:75]
	v_div_scale_f64 v[38:39], vcc_lo, v[74:75], v[30:31], v[74:75]
	v_rcp_f64_e32 v[6:7], v[36:37]
	s_waitcnt_depctr 0xfff
	v_fma_f64 v[8:9], -v[36:37], v[6:7], 1.0
	s_delay_alu instid0(VALU_DEP_1) | instskip(NEXT) | instid1(VALU_DEP_1)
	v_fma_f64 v[6:7], v[6:7], v[8:9], v[6:7]
	v_fma_f64 v[8:9], -v[36:37], v[6:7], 1.0
	s_delay_alu instid0(VALU_DEP_1)
	v_fma_f64 v[40:41], v[6:7], v[8:9], v[6:7]
	v_mul_f64 v[8:9], v[70:71], v[66:67]
	s_waitcnt vmcnt(8)
	v_add_f64 v[6:7], v[11:12], -v[46:47]
	v_mul_f64 v[10:11], v[62:63], v[56:57]
	v_dual_mov_b32 v12, v46 :: v_dual_mov_b32 v13, v47
	s_waitcnt vmcnt(4)
	v_add_f64 v[4:5], v[4:5], -v[54:55]
	v_add_f64 v[14:15], v[15:16], -v[46:47]
	s_waitcnt vmcnt(3)
	v_add_f64 v[20:21], v[19:20], -v[54:55]
	v_mul_f64 v[44:45], v[38:39], v[40:41]
	v_fma_f64 v[48:49], v[68:69], v[50:51], -v[8:9]
	v_mul_f64 v[52:53], v[6:7], v[42:43]
	scratch_store_b128 off, v[10:13], s0    ; 16-byte Folded Spill
	v_add_f64 v[12:13], v[17:18], -v[46:47]
	v_mul_f64 v[46:47], v[72:73], v[50:51]
	s_movk_i32 s0, 0x1148
	s_waitcnt vmcnt(2)
	v_add_f64 v[8:9], v[28:29], -v[54:55]
	scratch_store_b64 off, v[50:51], s0     ; 8-byte Folded Spill
	v_fma_f64 v[50:51], v[60:61], v[50:51], -v[10:11]
	v_add_f64 v[10:11], v[22:23], -v[58:59]
	s_waitcnt vmcnt(1)
	v_add_f64 v[18:19], v[32:33], -v[58:59]
	v_dual_mov_b32 v16, v58 :: v_dual_mov_b32 v17, v59
	s_movk_i32 s0, 0x1118
	scratch_store_b64 off, v[54:55], s0     ; 8-byte Folded Spill
	s_movk_i32 s0, 0x1130
	scratch_store_b128 off, v[14:17], s0    ; 16-byte Folded Spill
	s_waitcnt vmcnt(0)
	v_add_f64 v[16:17], v[34:35], -v[58:59]
	s_movk_i32 s0, 0x1140
	scratch_store_b64 off, v[56:57], s0     ; 8-byte Folded Spill
	s_movk_i32 s0, 0x1160
	v_fma_f64 v[28:29], -v[36:37], v[44:45], v[38:39]
	v_mul_f64 v[36:37], v[14:15], v[42:43]
	v_mul_f64 v[32:33], v[6:7], v[48:49]
	;; [unrolled: 1-line block ×4, first 2 shown]
	v_fma_f64 v[22:23], v[70:71], v[56:57], -v[46:47]
	v_mul_f64 v[42:43], v[12:13], v[48:49]
	scratch_store_b64 off, v[66:67], s0     ; 8-byte Folded Spill
	s_movk_i32 s0, 0x1180
	v_fma_f64 v[46:47], v[4:5], v[50:51], v[52:53]
	scratch_store_b64 off, v[74:75], s0     ; 8-byte Folded Spill
	s_movk_i32 s0, 0x1100
	v_div_fmas_f64 v[28:29], v[28:29], v[40:41], v[44:45]
	v_fma_f64 v[36:37], v[20:21], v[50:51], v[36:37]
	v_fma_f64 v[38:39], v[8:9], v[50:51], v[38:39]
	;; [unrolled: 1-line block ×6, first 2 shown]
	v_div_fixup_f64 v[22:23], v[28:29], v[30:31], v[74:75]
	v_fma_f64 v[28:29], v[18:19], v[26:27], v[36:37]
	v_fma_f64 v[26:27], v[16:17], v[26:27], v[38:39]
	;; [unrolled: 1-line block ×5, first 2 shown]
	v_fma_f64 v[24:25], -v[42:43], v[22:23], 1.0
	v_fma_f64 v[36:37], -v[28:29], v[22:23], 1.0
	v_mul_f64 v[77:78], v[42:43], v[22:23]
	v_mul_f64 v[104:105], v[28:29], v[22:23]
	v_fma_f64 v[38:39], -v[26:27], v[22:23], 1.0
	v_mul_f64 v[100:101], v[26:27], v[22:23]
	v_mul_f64 v[26:27], v[30:31], v[22:23]
	v_mov_b32_e32 v28, 0
	v_fma_f64 v[79:80], -v[30:31], v[22:23], v[24:25]
	v_mov_b32_e32 v30, 6
	v_fma_f64 v[81:82], -v[32:33], v[22:23], v[36:37]
	v_mov_b32_e32 v247, -1
	v_fma_f64 v[24:25], -v[34:35], v[22:23], v[38:39]
	scratch_store_b64 off, v[26:27], s0     ; 8-byte Folded Spill
	v_mul_f64 v[26:27], v[32:33], v[22:23]
	s_movk_i32 s0, 0x10f8
	v_dual_mov_b32 v33, 3 :: v_dual_mov_b32 v32, 8
	scratch_store_b64 off, v[26:27], s0     ; 8-byte Folded Spill
	v_mul_f64 v[26:27], v[34:35], v[22:23]
	s_movk_i32 s0, 0x10f0
	scratch_store_b64 off, v[26:27], s0     ; 8-byte Folded Spill
	v_dual_mov_b32 v26, v79 :: v_dual_mov_b32 v29, 5
	v_dual_mov_b32 v250, v247 :: v_dual_mov_b32 v31, 7
	v_mov_b32_e32 v74, v247
	v_mov_b32_e32 v255, v247
	;; [unrolled: 1-line block ×3, first 2 shown]
	s_clause 0x5
	scratch_store_b128 off, v[79:82], off offset:16
	scratch_store_b64 off, v[24:25], off offset:32
	scratch_store_b128 off, v[245:248], off offset:56
	scratch_store_b128 off, v[29:32], off offset:72
	scratch_store_b32 off, v247, off offset:88
	scratch_store_b32 off, v33, off offset:100
	s_set_inst_prefetch_distance 0x1
	.p2align	6
.LBB4_7:                                ; =>This Inner Loop Header: Depth=1
	v_lshl_add_u32 v29, v28, 2, v99
	v_cmp_le_f64_e32 vcc_lo, 0, v[26:27]
	v_cmp_gt_f64_e64 s1, 0, v[26:27]
	scratch_load_b32 v31, v29, off
	s_waitcnt vmcnt(0)
	v_max_i32_e32 v32, 0, v31
	v_cmp_gt_i32_e64 s3, 0, v31
	s_delay_alu instid0(VALU_DEP_2)
	v_lshl_add_u32 v29, v32, 3, 16
	scratch_load_b64 v[29:30], v29, off
	s_waitcnt vmcnt(0)
	v_cmp_gt_f64_e64 s0, 0, v[29:30]
	v_cmp_le_f64_e64 s2, 0, v[29:30]
	v_dual_mov_b32 v26, v29 :: v_dual_mov_b32 v27, v30
	s_delay_alu instid0(VALU_DEP_3) | instskip(NEXT) | instid1(VALU_DEP_2)
	s_and_b32 vcc_lo, vcc_lo, s0
	s_and_b32 s0, s1, s2
	v_cndmask_b32_e32 v247, v247, v28, vcc_lo
	v_cndmask_b32_e32 v74, v74, v32, vcc_lo
	v_cndmask_b32_e64 v255, v255, v32, s0
	s_or_b32 s4, s3, s4
	v_cndmask_b32_e64 v250, v250, v28, s0
	v_mov_b32_e32 v28, v31
	s_and_not1_b32 s0, s15, exec_lo
	s_and_b32 s1, s1, exec_lo
	s_delay_alu instid0(SALU_CYCLE_1)
	s_or_b32 s15, s0, s1
	s_and_not1_b32 exec_lo, exec_lo, s4
	s_cbranch_execnz .LBB4_7
; %bb.8:
	s_set_inst_prefetch_distance 0x2
	s_or_b32 exec_lo, exec_lo, s4
	v_mul_f64 v[26:27], v[68:69], v[62:63]
	v_mul_f64 v[28:29], v[70:71], v[60:61]
	v_add_f64 v[0:1], v[0:1], -v[2:3]
	s_movk_i32 s0, 0x1168
	v_dual_mov_b32 v66, -1 :: v_dual_mov_b32 v75, -1
	scratch_store_b64 off, v[68:69], s0     ; 8-byte Folded Spill
	s_movk_i32 s0, 0x1188
	v_mov_b32_e32 v76, -1
	scratch_store_b64 off, v[60:61], s0     ; 8-byte Folded Spill
	s_movk_i32 s0, 0x1158
	scratch_store_b64 off, v[64:65], s0     ; 8-byte Folded Spill
	s_movk_i32 s0, 0x1170
	;; [unrolled: 2-line block ×4, first 2 shown]
	scratch_store_b64 off, v[72:73], s0     ; 8-byte Folded Spill
	v_cmp_lt_i32_e64 s0, -1, v247
	v_fma_f64 v[26:27], v[70:71], v[64:65], -v[26:27]
	v_fma_f64 v[28:29], v[72:73], v[62:63], -v[28:29]
	s_delay_alu instid0(VALU_DEP_2) | instskip(SKIP_2) | instid1(VALU_DEP_3)
	v_mul_f64 v[14:15], v[14:15], v[26:27]
	v_mul_f64 v[6:7], v[6:7], v[26:27]
	;; [unrolled: 1-line block ×3, first 2 shown]
	v_fma_f64 v[2:3], v[20:21], v[28:29], v[14:15]
	s_delay_alu instid0(VALU_DEP_3) | instskip(NEXT) | instid1(VALU_DEP_3)
	v_fma_f64 v[4:5], v[4:5], v[28:29], v[6:7]
	v_fma_f64 v[6:7], v[8:9], v[28:29], v[12:13]
	s_delay_alu instid0(VALU_DEP_3) | instskip(NEXT) | instid1(VALU_DEP_3)
	v_fma_f64 v[2:3], v[18:19], v[0:1], v[2:3]
	;; [unrolled: 3-line block ×3, first 2 shown]
	v_mul_f64 v[253:254], v[2:3], v[22:23]
	s_delay_alu instid0(VALU_DEP_3) | instskip(NEXT) | instid1(VALU_DEP_3)
	v_mul_f64 v[251:252], v[4:5], v[22:23]
	v_mul_f64 v[245:246], v[0:1], v[22:23]
	v_fma_f64 v[248:249], -v[4:5], v[22:23], v[79:80]
	v_fma_f64 v[166:167], -v[2:3], v[22:23], v[81:82]
	;; [unrolled: 1-line block ×3, first 2 shown]
	s_mov_b32 s16, exec_lo
                                        ; implicit-def: $vgpr0_vgpr1_vgpr2_vgpr3_vgpr4_vgpr5_vgpr6_vgpr7_vgpr8_vgpr9_vgpr10_vgpr11_vgpr12_vgpr13_vgpr14_vgpr15_vgpr16_vgpr17_vgpr18_vgpr19_vgpr20_vgpr21_vgpr22_vgpr23_vgpr24_vgpr25_vgpr26_vgpr27_vgpr28_vgpr29_vgpr30_vgpr31
                                        ; kill: killed $vgpr0_vgpr1_vgpr2_vgpr3_vgpr4_vgpr5_vgpr6_vgpr7_vgpr8_vgpr9_vgpr10_vgpr11_vgpr12_vgpr13_vgpr14_vgpr15_vgpr16_vgpr17_vgpr18_vgpr19_vgpr20_vgpr21_vgpr22_vgpr23_vgpr24_vgpr25_vgpr26_vgpr27_vgpr28_vgpr29_vgpr30_vgpr31
	s_delay_alu instid0(SALU_CYCLE_1) | instskip(NEXT) | instid1(SALU_CYCLE_1)
	s_and_b32 s1, s16, s0
                                        ; implicit-def: $vgpr0_vgpr1_vgpr2_vgpr3_vgpr4_vgpr5_vgpr6_vgpr7_vgpr8_vgpr9_vgpr10_vgpr11_vgpr12_vgpr13_vgpr14_vgpr15_vgpr16_vgpr17_vgpr18_vgpr19_vgpr20_vgpr21_vgpr22_vgpr23_vgpr24_vgpr25_vgpr26_vgpr27_vgpr28_vgpr29_vgpr30_vgpr31
                                        ; kill: killed $vgpr0_vgpr1_vgpr2_vgpr3_vgpr4_vgpr5_vgpr6_vgpr7_vgpr8_vgpr9_vgpr10_vgpr11_vgpr12_vgpr13_vgpr14_vgpr15_vgpr16_vgpr17_vgpr18_vgpr19_vgpr20_vgpr21_vgpr22_vgpr23_vgpr24_vgpr25_vgpr26_vgpr27_vgpr28_vgpr29_vgpr30_vgpr31
                                        ; implicit-def: $vgpr109_vgpr110_vgpr111_vgpr112_vgpr113_vgpr114_vgpr115_vgpr116_vgpr117_vgpr118_vgpr119_vgpr120_vgpr121_vgpr122_vgpr123_vgpr124_vgpr125_vgpr126_vgpr127_vgpr128_vgpr129_vgpr130_vgpr131_vgpr132_vgpr133_vgpr134_vgpr135_vgpr136_vgpr137_vgpr138_vgpr139_vgpr140
                                        ; implicit-def: $vgpr185_vgpr186_vgpr187_vgpr188_vgpr189_vgpr190_vgpr191_vgpr192_vgpr193_vgpr194_vgpr195_vgpr196_vgpr197_vgpr198_vgpr199_vgpr200_vgpr201_vgpr202_vgpr203_vgpr204_vgpr205_vgpr206_vgpr207_vgpr208_vgpr209_vgpr210_vgpr211_vgpr212_vgpr213_vgpr214_vgpr215_vgpr216
                                        ; implicit-def: $vgpr117_vgpr118_vgpr119_vgpr120_vgpr121_vgpr122_vgpr123_vgpr124_vgpr125_vgpr126_vgpr127_vgpr128_vgpr129_vgpr130_vgpr131_vgpr132_vgpr133_vgpr134_vgpr135_vgpr136_vgpr137_vgpr138_vgpr139_vgpr140_vgpr141_vgpr142_vgpr143_vgpr144_vgpr145_vgpr146_vgpr147_vgpr148
                                        ; implicit-def: $vgpr0_vgpr1_vgpr2_vgpr3_vgpr4_vgpr5_vgpr6_vgpr7_vgpr8_vgpr9_vgpr10_vgpr11_vgpr12_vgpr13_vgpr14_vgpr15_vgpr16_vgpr17_vgpr18_vgpr19_vgpr20_vgpr21_vgpr22_vgpr23_vgpr24_vgpr25_vgpr26_vgpr27_vgpr28_vgpr29_vgpr30_vgpr31
                                        ; kill: killed $vgpr0_vgpr1_vgpr2_vgpr3_vgpr4_vgpr5_vgpr6_vgpr7_vgpr8_vgpr9_vgpr10_vgpr11_vgpr12_vgpr13_vgpr14_vgpr15_vgpr16_vgpr17_vgpr18_vgpr19_vgpr20_vgpr21_vgpr22_vgpr23_vgpr24_vgpr25_vgpr26_vgpr27_vgpr28_vgpr29_vgpr30_vgpr31
                                        ; implicit-def: $vgpr34_vgpr35_vgpr36_vgpr37_vgpr38_vgpr39_vgpr40_vgpr41_vgpr42_vgpr43_vgpr44_vgpr45_vgpr46_vgpr47_vgpr48_vgpr49_vgpr50_vgpr51_vgpr52_vgpr53_vgpr54_vgpr55_vgpr56_vgpr57_vgpr58_vgpr59_vgpr60_vgpr61_vgpr62_vgpr63_vgpr64_vgpr65
                                        ; implicit-def: $vgpr213_vgpr214_vgpr215_vgpr216_vgpr217_vgpr218_vgpr219_vgpr220_vgpr221_vgpr222_vgpr223_vgpr224_vgpr225_vgpr226_vgpr227_vgpr228_vgpr229_vgpr230_vgpr231_vgpr232_vgpr233_vgpr234_vgpr235_vgpr236_vgpr237_vgpr238_vgpr239_vgpr240_vgpr241_vgpr242_vgpr243_vgpr244
                                        ; implicit-def: $vgpr169_vgpr170_vgpr171_vgpr172_vgpr173_vgpr174_vgpr175_vgpr176_vgpr177_vgpr178_vgpr179_vgpr180_vgpr181_vgpr182_vgpr183_vgpr184_vgpr185_vgpr186_vgpr187_vgpr188_vgpr189_vgpr190_vgpr191_vgpr192_vgpr193_vgpr194_vgpr195_vgpr196_vgpr197_vgpr198_vgpr199_vgpr200
                                        ; implicit-def: $vgpr127_vgpr128_vgpr129_vgpr130_vgpr131_vgpr132_vgpr133_vgpr134_vgpr135_vgpr136_vgpr137_vgpr138_vgpr139_vgpr140_vgpr141_vgpr142_vgpr143_vgpr144_vgpr145_vgpr146_vgpr147_vgpr148_vgpr149_vgpr150_vgpr151_vgpr152_vgpr153_vgpr154_vgpr155_vgpr156_vgpr157_vgpr158
                                        ; implicit-def: $vgpr0_vgpr1_vgpr2_vgpr3_vgpr4_vgpr5_vgpr6_vgpr7_vgpr8_vgpr9_vgpr10_vgpr11_vgpr12_vgpr13_vgpr14_vgpr15_vgpr16_vgpr17_vgpr18_vgpr19_vgpr20_vgpr21_vgpr22_vgpr23_vgpr24_vgpr25_vgpr26_vgpr27_vgpr28_vgpr29_vgpr30_vgpr31
                                        ; kill: killed $vgpr0_vgpr1_vgpr2_vgpr3_vgpr4_vgpr5_vgpr6_vgpr7_vgpr8_vgpr9_vgpr10_vgpr11_vgpr12_vgpr13_vgpr14_vgpr15_vgpr16_vgpr17_vgpr18_vgpr19_vgpr20_vgpr21_vgpr22_vgpr23_vgpr24_vgpr25_vgpr26_vgpr27_vgpr28_vgpr29_vgpr30_vgpr31
                                        ; implicit-def: $vgpr0_vgpr1_vgpr2_vgpr3_vgpr4_vgpr5_vgpr6_vgpr7_vgpr8_vgpr9_vgpr10_vgpr11_vgpr12_vgpr13_vgpr14_vgpr15_vgpr16_vgpr17_vgpr18_vgpr19_vgpr20_vgpr21_vgpr22_vgpr23_vgpr24_vgpr25_vgpr26_vgpr27_vgpr28_vgpr29_vgpr30_vgpr31
                                        ; kill: killed $vgpr0_vgpr1_vgpr2_vgpr3_vgpr4_vgpr5_vgpr6_vgpr7_vgpr8_vgpr9_vgpr10_vgpr11_vgpr12_vgpr13_vgpr14_vgpr15_vgpr16_vgpr17_vgpr18_vgpr19_vgpr20_vgpr21_vgpr22_vgpr23_vgpr24_vgpr25_vgpr26_vgpr27_vgpr28_vgpr29_vgpr30_vgpr31
                                        ; implicit-def: $vgpr0_vgpr1_vgpr2_vgpr3_vgpr4_vgpr5_vgpr6_vgpr7_vgpr8_vgpr9_vgpr10_vgpr11_vgpr12_vgpr13_vgpr14_vgpr15_vgpr16_vgpr17_vgpr18_vgpr19_vgpr20_vgpr21_vgpr22_vgpr23_vgpr24_vgpr25_vgpr26_vgpr27_vgpr28_vgpr29_vgpr30_vgpr31
                                        ; kill: killed $vgpr0_vgpr1_vgpr2_vgpr3_vgpr4_vgpr5_vgpr6_vgpr7_vgpr8_vgpr9_vgpr10_vgpr11_vgpr12_vgpr13_vgpr14_vgpr15_vgpr16_vgpr17_vgpr18_vgpr19_vgpr20_vgpr21_vgpr22_vgpr23_vgpr24_vgpr25_vgpr26_vgpr27_vgpr28_vgpr29_vgpr30_vgpr31
                                        ; implicit-def: $vgpr0_vgpr1_vgpr2_vgpr3_vgpr4_vgpr5_vgpr6_vgpr7_vgpr8_vgpr9_vgpr10_vgpr11_vgpr12_vgpr13_vgpr14_vgpr15_vgpr16_vgpr17_vgpr18_vgpr19_vgpr20_vgpr21_vgpr22_vgpr23_vgpr24_vgpr25_vgpr26_vgpr27_vgpr28_vgpr29_vgpr30_vgpr31
                                        ; kill: killed $vgpr0_vgpr1_vgpr2_vgpr3_vgpr4_vgpr5_vgpr6_vgpr7_vgpr8_vgpr9_vgpr10_vgpr11_vgpr12_vgpr13_vgpr14_vgpr15_vgpr16_vgpr17_vgpr18_vgpr19_vgpr20_vgpr21_vgpr22_vgpr23_vgpr24_vgpr25_vgpr26_vgpr27_vgpr28_vgpr29_vgpr30_vgpr31
                                        ; implicit-def: $vgpr0_vgpr1_vgpr2_vgpr3_vgpr4_vgpr5_vgpr6_vgpr7_vgpr8_vgpr9_vgpr10_vgpr11_vgpr12_vgpr13_vgpr14_vgpr15_vgpr16_vgpr17_vgpr18_vgpr19_vgpr20_vgpr21_vgpr22_vgpr23_vgpr24_vgpr25_vgpr26_vgpr27_vgpr28_vgpr29_vgpr30_vgpr31
                                        ; kill: killed $vgpr0_vgpr1_vgpr2_vgpr3_vgpr4_vgpr5_vgpr6_vgpr7_vgpr8_vgpr9_vgpr10_vgpr11_vgpr12_vgpr13_vgpr14_vgpr15_vgpr16_vgpr17_vgpr18_vgpr19_vgpr20_vgpr21_vgpr22_vgpr23_vgpr24_vgpr25_vgpr26_vgpr27_vgpr28_vgpr29_vgpr30_vgpr31
                                        ; implicit-def: $vgpr0_vgpr1_vgpr2_vgpr3_vgpr4_vgpr5_vgpr6_vgpr7_vgpr8_vgpr9_vgpr10_vgpr11_vgpr12_vgpr13_vgpr14_vgpr15_vgpr16_vgpr17_vgpr18_vgpr19_vgpr20_vgpr21_vgpr22_vgpr23_vgpr24_vgpr25_vgpr26_vgpr27_vgpr28_vgpr29_vgpr30_vgpr31
                                        ; kill: killed $vgpr0_vgpr1_vgpr2_vgpr3_vgpr4_vgpr5_vgpr6_vgpr7_vgpr8_vgpr9_vgpr10_vgpr11_vgpr12_vgpr13_vgpr14_vgpr15_vgpr16_vgpr17_vgpr18_vgpr19_vgpr20_vgpr21_vgpr22_vgpr23_vgpr24_vgpr25_vgpr26_vgpr27_vgpr28_vgpr29_vgpr30_vgpr31
                                        ; implicit-def: $vgpr0_vgpr1_vgpr2_vgpr3_vgpr4_vgpr5_vgpr6_vgpr7_vgpr8_vgpr9_vgpr10_vgpr11_vgpr12_vgpr13_vgpr14_vgpr15_vgpr16_vgpr17_vgpr18_vgpr19_vgpr20_vgpr21_vgpr22_vgpr23_vgpr24_vgpr25_vgpr26_vgpr27_vgpr28_vgpr29_vgpr30_vgpr31
                                        ; kill: killed $vgpr0_vgpr1_vgpr2_vgpr3_vgpr4_vgpr5_vgpr6_vgpr7_vgpr8_vgpr9_vgpr10_vgpr11_vgpr12_vgpr13_vgpr14_vgpr15_vgpr16_vgpr17_vgpr18_vgpr19_vgpr20_vgpr21_vgpr22_vgpr23_vgpr24_vgpr25_vgpr26_vgpr27_vgpr28_vgpr29_vgpr30_vgpr31
                                        ; implicit-def: $vgpr0_vgpr1_vgpr2_vgpr3_vgpr4_vgpr5_vgpr6_vgpr7_vgpr8_vgpr9_vgpr10_vgpr11_vgpr12_vgpr13_vgpr14_vgpr15_vgpr16_vgpr17_vgpr18_vgpr19_vgpr20_vgpr21_vgpr22_vgpr23_vgpr24_vgpr25_vgpr26_vgpr27_vgpr28_vgpr29_vgpr30_vgpr31
                                        ; kill: killed $vgpr0_vgpr1_vgpr2_vgpr3_vgpr4_vgpr5_vgpr6_vgpr7_vgpr8_vgpr9_vgpr10_vgpr11_vgpr12_vgpr13_vgpr14_vgpr15_vgpr16_vgpr17_vgpr18_vgpr19_vgpr20_vgpr21_vgpr22_vgpr23_vgpr24_vgpr25_vgpr26_vgpr27_vgpr28_vgpr29_vgpr30_vgpr31
                                        ; implicit-def: $vgpr0_vgpr1_vgpr2_vgpr3_vgpr4_vgpr5_vgpr6_vgpr7_vgpr8_vgpr9_vgpr10_vgpr11_vgpr12_vgpr13_vgpr14_vgpr15_vgpr16_vgpr17_vgpr18_vgpr19_vgpr20_vgpr21_vgpr22_vgpr23_vgpr24_vgpr25_vgpr26_vgpr27_vgpr28_vgpr29_vgpr30_vgpr31
                                        ; kill: killed $vgpr0_vgpr1_vgpr2_vgpr3_vgpr4_vgpr5_vgpr6_vgpr7_vgpr8_vgpr9_vgpr10_vgpr11_vgpr12_vgpr13_vgpr14_vgpr15_vgpr16_vgpr17_vgpr18_vgpr19_vgpr20_vgpr21_vgpr22_vgpr23_vgpr24_vgpr25_vgpr26_vgpr27_vgpr28_vgpr29_vgpr30_vgpr31
                                        ; implicit-def: $vgpr0_vgpr1_vgpr2_vgpr3_vgpr4_vgpr5_vgpr6_vgpr7_vgpr8_vgpr9_vgpr10_vgpr11_vgpr12_vgpr13_vgpr14_vgpr15_vgpr16_vgpr17_vgpr18_vgpr19_vgpr20_vgpr21_vgpr22_vgpr23_vgpr24_vgpr25_vgpr26_vgpr27_vgpr28_vgpr29_vgpr30_vgpr31
                                        ; kill: killed $vgpr0_vgpr1_vgpr2_vgpr3_vgpr4_vgpr5_vgpr6_vgpr7_vgpr8_vgpr9_vgpr10_vgpr11_vgpr12_vgpr13_vgpr14_vgpr15_vgpr16_vgpr17_vgpr18_vgpr19_vgpr20_vgpr21_vgpr22_vgpr23_vgpr24_vgpr25_vgpr26_vgpr27_vgpr28_vgpr29_vgpr30_vgpr31
                                        ; implicit-def: $vgpr0_vgpr1_vgpr2_vgpr3_vgpr4_vgpr5_vgpr6_vgpr7_vgpr8_vgpr9_vgpr10_vgpr11_vgpr12_vgpr13_vgpr14_vgpr15_vgpr16_vgpr17_vgpr18_vgpr19_vgpr20_vgpr21_vgpr22_vgpr23_vgpr24_vgpr25_vgpr26_vgpr27_vgpr28_vgpr29_vgpr30_vgpr31
                                        ; kill: killed $vgpr0_vgpr1_vgpr2_vgpr3_vgpr4_vgpr5_vgpr6_vgpr7_vgpr8_vgpr9_vgpr10_vgpr11_vgpr12_vgpr13_vgpr14_vgpr15_vgpr16_vgpr17_vgpr18_vgpr19_vgpr20_vgpr21_vgpr22_vgpr23_vgpr24_vgpr25_vgpr26_vgpr27_vgpr28_vgpr29_vgpr30_vgpr31
                                        ; implicit-def: $vgpr0_vgpr1_vgpr2_vgpr3_vgpr4_vgpr5_vgpr6_vgpr7_vgpr8_vgpr9_vgpr10_vgpr11_vgpr12_vgpr13_vgpr14_vgpr15_vgpr16_vgpr17_vgpr18_vgpr19_vgpr20_vgpr21_vgpr22_vgpr23_vgpr24_vgpr25_vgpr26_vgpr27_vgpr28_vgpr29_vgpr30_vgpr31
                                        ; kill: killed $vgpr0_vgpr1_vgpr2_vgpr3_vgpr4_vgpr5_vgpr6_vgpr7_vgpr8_vgpr9_vgpr10_vgpr11_vgpr12_vgpr13_vgpr14_vgpr15_vgpr16_vgpr17_vgpr18_vgpr19_vgpr20_vgpr21_vgpr22_vgpr23_vgpr24_vgpr25_vgpr26_vgpr27_vgpr28_vgpr29_vgpr30_vgpr31
                                        ; implicit-def: $vgpr0_vgpr1_vgpr2_vgpr3_vgpr4_vgpr5_vgpr6_vgpr7_vgpr8_vgpr9_vgpr10_vgpr11_vgpr12_vgpr13_vgpr14_vgpr15_vgpr16_vgpr17_vgpr18_vgpr19_vgpr20_vgpr21_vgpr22_vgpr23_vgpr24_vgpr25_vgpr26_vgpr27_vgpr28_vgpr29_vgpr30_vgpr31
                                        ; kill: killed $vgpr0_vgpr1_vgpr2_vgpr3_vgpr4_vgpr5_vgpr6_vgpr7_vgpr8_vgpr9_vgpr10_vgpr11_vgpr12_vgpr13_vgpr14_vgpr15_vgpr16_vgpr17_vgpr18_vgpr19_vgpr20_vgpr21_vgpr22_vgpr23_vgpr24_vgpr25_vgpr26_vgpr27_vgpr28_vgpr29_vgpr30_vgpr31
                                        ; implicit-def: $vgpr0_vgpr1_vgpr2_vgpr3_vgpr4_vgpr5_vgpr6_vgpr7_vgpr8_vgpr9_vgpr10_vgpr11_vgpr12_vgpr13_vgpr14_vgpr15_vgpr16_vgpr17_vgpr18_vgpr19_vgpr20_vgpr21_vgpr22_vgpr23_vgpr24_vgpr25_vgpr26_vgpr27_vgpr28_vgpr29_vgpr30_vgpr31
                                        ; kill: killed $vgpr0_vgpr1_vgpr2_vgpr3_vgpr4_vgpr5_vgpr6_vgpr7_vgpr8_vgpr9_vgpr10_vgpr11_vgpr12_vgpr13_vgpr14_vgpr15_vgpr16_vgpr17_vgpr18_vgpr19_vgpr20_vgpr21_vgpr22_vgpr23_vgpr24_vgpr25_vgpr26_vgpr27_vgpr28_vgpr29_vgpr30_vgpr31
                                        ; implicit-def: $vgpr0_vgpr1_vgpr2_vgpr3_vgpr4_vgpr5_vgpr6_vgpr7_vgpr8_vgpr9_vgpr10_vgpr11_vgpr12_vgpr13_vgpr14_vgpr15_vgpr16_vgpr17_vgpr18_vgpr19_vgpr20_vgpr21_vgpr22_vgpr23_vgpr24_vgpr25_vgpr26_vgpr27_vgpr28_vgpr29_vgpr30_vgpr31
                                        ; kill: killed $vgpr0_vgpr1_vgpr2_vgpr3_vgpr4_vgpr5_vgpr6_vgpr7_vgpr8_vgpr9_vgpr10_vgpr11_vgpr12_vgpr13_vgpr14_vgpr15_vgpr16_vgpr17_vgpr18_vgpr19_vgpr20_vgpr21_vgpr22_vgpr23_vgpr24_vgpr25_vgpr26_vgpr27_vgpr28_vgpr29_vgpr30_vgpr31
                                        ; implicit-def: $vgpr0_vgpr1_vgpr2_vgpr3_vgpr4_vgpr5_vgpr6_vgpr7_vgpr8_vgpr9_vgpr10_vgpr11_vgpr12_vgpr13_vgpr14_vgpr15_vgpr16_vgpr17_vgpr18_vgpr19_vgpr20_vgpr21_vgpr22_vgpr23_vgpr24_vgpr25_vgpr26_vgpr27_vgpr28_vgpr29_vgpr30_vgpr31
                                        ; kill: killed $vgpr0_vgpr1_vgpr2_vgpr3_vgpr4_vgpr5_vgpr6_vgpr7_vgpr8_vgpr9_vgpr10_vgpr11_vgpr12_vgpr13_vgpr14_vgpr15_vgpr16_vgpr17_vgpr18_vgpr19_vgpr20_vgpr21_vgpr22_vgpr23_vgpr24_vgpr25_vgpr26_vgpr27_vgpr28_vgpr29_vgpr30_vgpr31
                                        ; implicit-def: $vgpr0_vgpr1_vgpr2_vgpr3_vgpr4_vgpr5_vgpr6_vgpr7_vgpr8_vgpr9_vgpr10_vgpr11_vgpr12_vgpr13_vgpr14_vgpr15_vgpr16_vgpr17_vgpr18_vgpr19_vgpr20_vgpr21_vgpr22_vgpr23_vgpr24_vgpr25_vgpr26_vgpr27_vgpr28_vgpr29_vgpr30_vgpr31
                                        ; kill: killed $vgpr0_vgpr1_vgpr2_vgpr3_vgpr4_vgpr5_vgpr6_vgpr7_vgpr8_vgpr9_vgpr10_vgpr11_vgpr12_vgpr13_vgpr14_vgpr15_vgpr16_vgpr17_vgpr18_vgpr19_vgpr20_vgpr21_vgpr22_vgpr23_vgpr24_vgpr25_vgpr26_vgpr27_vgpr28_vgpr29_vgpr30_vgpr31
                                        ; implicit-def: $vgpr0_vgpr1_vgpr2_vgpr3_vgpr4_vgpr5_vgpr6_vgpr7_vgpr8_vgpr9_vgpr10_vgpr11_vgpr12_vgpr13_vgpr14_vgpr15_vgpr16_vgpr17_vgpr18_vgpr19_vgpr20_vgpr21_vgpr22_vgpr23_vgpr24_vgpr25_vgpr26_vgpr27_vgpr28_vgpr29_vgpr30_vgpr31
                                        ; kill: killed $vgpr0_vgpr1_vgpr2_vgpr3_vgpr4_vgpr5_vgpr6_vgpr7_vgpr8_vgpr9_vgpr10_vgpr11_vgpr12_vgpr13_vgpr14_vgpr15_vgpr16_vgpr17_vgpr18_vgpr19_vgpr20_vgpr21_vgpr22_vgpr23_vgpr24_vgpr25_vgpr26_vgpr27_vgpr28_vgpr29_vgpr30_vgpr31
                                        ; implicit-def: $vgpr0_vgpr1_vgpr2_vgpr3_vgpr4_vgpr5_vgpr6_vgpr7_vgpr8_vgpr9_vgpr10_vgpr11_vgpr12_vgpr13_vgpr14_vgpr15_vgpr16_vgpr17_vgpr18_vgpr19_vgpr20_vgpr21_vgpr22_vgpr23_vgpr24_vgpr25_vgpr26_vgpr27_vgpr28_vgpr29_vgpr30_vgpr31
                                        ; kill: killed $vgpr0_vgpr1_vgpr2_vgpr3_vgpr4_vgpr5_vgpr6_vgpr7_vgpr8_vgpr9_vgpr10_vgpr11_vgpr12_vgpr13_vgpr14_vgpr15_vgpr16_vgpr17_vgpr18_vgpr19_vgpr20_vgpr21_vgpr22_vgpr23_vgpr24_vgpr25_vgpr26_vgpr27_vgpr28_vgpr29_vgpr30_vgpr31
                                        ; implicit-def: $vgpr0_vgpr1_vgpr2_vgpr3_vgpr4_vgpr5_vgpr6_vgpr7_vgpr8_vgpr9_vgpr10_vgpr11_vgpr12_vgpr13_vgpr14_vgpr15_vgpr16_vgpr17_vgpr18_vgpr19_vgpr20_vgpr21_vgpr22_vgpr23_vgpr24_vgpr25_vgpr26_vgpr27_vgpr28_vgpr29_vgpr30_vgpr31
                                        ; kill: killed $vgpr0_vgpr1_vgpr2_vgpr3_vgpr4_vgpr5_vgpr6_vgpr7_vgpr8_vgpr9_vgpr10_vgpr11_vgpr12_vgpr13_vgpr14_vgpr15_vgpr16_vgpr17_vgpr18_vgpr19_vgpr20_vgpr21_vgpr22_vgpr23_vgpr24_vgpr25_vgpr26_vgpr27_vgpr28_vgpr29_vgpr30_vgpr31
                                        ; implicit-def: $vgpr0_vgpr1_vgpr2_vgpr3_vgpr4_vgpr5_vgpr6_vgpr7_vgpr8_vgpr9_vgpr10_vgpr11_vgpr12_vgpr13_vgpr14_vgpr15_vgpr16_vgpr17_vgpr18_vgpr19_vgpr20_vgpr21_vgpr22_vgpr23_vgpr24_vgpr25_vgpr26_vgpr27_vgpr28_vgpr29_vgpr30_vgpr31
                                        ; kill: killed $vgpr0_vgpr1_vgpr2_vgpr3_vgpr4_vgpr5_vgpr6_vgpr7_vgpr8_vgpr9_vgpr10_vgpr11_vgpr12_vgpr13_vgpr14_vgpr15_vgpr16_vgpr17_vgpr18_vgpr19_vgpr20_vgpr21_vgpr22_vgpr23_vgpr24_vgpr25_vgpr26_vgpr27_vgpr28_vgpr29_vgpr30_vgpr31
                                        ; implicit-def: $vgpr0_vgpr1_vgpr2_vgpr3_vgpr4_vgpr5_vgpr6_vgpr7_vgpr8_vgpr9_vgpr10_vgpr11_vgpr12_vgpr13_vgpr14_vgpr15_vgpr16_vgpr17_vgpr18_vgpr19_vgpr20_vgpr21_vgpr22_vgpr23_vgpr24_vgpr25_vgpr26_vgpr27_vgpr28_vgpr29_vgpr30_vgpr31
                                        ; kill: killed $vgpr0_vgpr1_vgpr2_vgpr3_vgpr4_vgpr5_vgpr6_vgpr7_vgpr8_vgpr9_vgpr10_vgpr11_vgpr12_vgpr13_vgpr14_vgpr15_vgpr16_vgpr17_vgpr18_vgpr19_vgpr20_vgpr21_vgpr22_vgpr23_vgpr24_vgpr25_vgpr26_vgpr27_vgpr28_vgpr29_vgpr30_vgpr31
                                        ; implicit-def: $vgpr0_vgpr1_vgpr2_vgpr3_vgpr4_vgpr5_vgpr6_vgpr7_vgpr8_vgpr9_vgpr10_vgpr11_vgpr12_vgpr13_vgpr14_vgpr15_vgpr16_vgpr17_vgpr18_vgpr19_vgpr20_vgpr21_vgpr22_vgpr23_vgpr24_vgpr25_vgpr26_vgpr27_vgpr28_vgpr29_vgpr30_vgpr31
                                        ; kill: killed $vgpr0_vgpr1_vgpr2_vgpr3_vgpr4_vgpr5_vgpr6_vgpr7_vgpr8_vgpr9_vgpr10_vgpr11_vgpr12_vgpr13_vgpr14_vgpr15_vgpr16_vgpr17_vgpr18_vgpr19_vgpr20_vgpr21_vgpr22_vgpr23_vgpr24_vgpr25_vgpr26_vgpr27_vgpr28_vgpr29_vgpr30_vgpr31
                                        ; implicit-def: $vgpr0_vgpr1_vgpr2_vgpr3_vgpr4_vgpr5_vgpr6_vgpr7_vgpr8_vgpr9_vgpr10_vgpr11_vgpr12_vgpr13_vgpr14_vgpr15_vgpr16_vgpr17_vgpr18_vgpr19_vgpr20_vgpr21_vgpr22_vgpr23_vgpr24_vgpr25_vgpr26_vgpr27_vgpr28_vgpr29_vgpr30_vgpr31
                                        ; kill: killed $vgpr0_vgpr1_vgpr2_vgpr3_vgpr4_vgpr5_vgpr6_vgpr7_vgpr8_vgpr9_vgpr10_vgpr11_vgpr12_vgpr13_vgpr14_vgpr15_vgpr16_vgpr17_vgpr18_vgpr19_vgpr20_vgpr21_vgpr22_vgpr23_vgpr24_vgpr25_vgpr26_vgpr27_vgpr28_vgpr29_vgpr30_vgpr31
                                        ; implicit-def: $vgpr0_vgpr1_vgpr2_vgpr3_vgpr4_vgpr5_vgpr6_vgpr7_vgpr8_vgpr9_vgpr10_vgpr11_vgpr12_vgpr13_vgpr14_vgpr15_vgpr16_vgpr17_vgpr18_vgpr19_vgpr20_vgpr21_vgpr22_vgpr23_vgpr24_vgpr25_vgpr26_vgpr27_vgpr28_vgpr29_vgpr30_vgpr31
                                        ; kill: killed $vgpr0_vgpr1_vgpr2_vgpr3_vgpr4_vgpr5_vgpr6_vgpr7_vgpr8_vgpr9_vgpr10_vgpr11_vgpr12_vgpr13_vgpr14_vgpr15_vgpr16_vgpr17_vgpr18_vgpr19_vgpr20_vgpr21_vgpr22_vgpr23_vgpr24_vgpr25_vgpr26_vgpr27_vgpr28_vgpr29_vgpr30_vgpr31
                                        ; implicit-def: $vgpr0_vgpr1_vgpr2_vgpr3_vgpr4_vgpr5_vgpr6_vgpr7_vgpr8_vgpr9_vgpr10_vgpr11_vgpr12_vgpr13_vgpr14_vgpr15_vgpr16_vgpr17_vgpr18_vgpr19_vgpr20_vgpr21_vgpr22_vgpr23_vgpr24_vgpr25_vgpr26_vgpr27_vgpr28_vgpr29_vgpr30_vgpr31
                                        ; kill: killed $vgpr0_vgpr1_vgpr2_vgpr3_vgpr4_vgpr5_vgpr6_vgpr7_vgpr8_vgpr9_vgpr10_vgpr11_vgpr12_vgpr13_vgpr14_vgpr15_vgpr16_vgpr17_vgpr18_vgpr19_vgpr20_vgpr21_vgpr22_vgpr23_vgpr24_vgpr25_vgpr26_vgpr27_vgpr28_vgpr29_vgpr30_vgpr31
                                        ; implicit-def: $vgpr0_vgpr1_vgpr2_vgpr3_vgpr4_vgpr5_vgpr6_vgpr7_vgpr8_vgpr9_vgpr10_vgpr11_vgpr12_vgpr13_vgpr14_vgpr15_vgpr16_vgpr17_vgpr18_vgpr19_vgpr20_vgpr21_vgpr22_vgpr23_vgpr24_vgpr25_vgpr26_vgpr27_vgpr28_vgpr29_vgpr30_vgpr31
                                        ; kill: killed $vgpr0_vgpr1_vgpr2_vgpr3_vgpr4_vgpr5_vgpr6_vgpr7_vgpr8_vgpr9_vgpr10_vgpr11_vgpr12_vgpr13_vgpr14_vgpr15_vgpr16_vgpr17_vgpr18_vgpr19_vgpr20_vgpr21_vgpr22_vgpr23_vgpr24_vgpr25_vgpr26_vgpr27_vgpr28_vgpr29_vgpr30_vgpr31
                                        ; implicit-def: $vgpr0_vgpr1_vgpr2_vgpr3_vgpr4_vgpr5_vgpr6_vgpr7_vgpr8_vgpr9_vgpr10_vgpr11_vgpr12_vgpr13_vgpr14_vgpr15_vgpr16_vgpr17_vgpr18_vgpr19_vgpr20_vgpr21_vgpr22_vgpr23_vgpr24_vgpr25_vgpr26_vgpr27_vgpr28_vgpr29_vgpr30_vgpr31
                                        ; kill: killed $vgpr0_vgpr1_vgpr2_vgpr3_vgpr4_vgpr5_vgpr6_vgpr7_vgpr8_vgpr9_vgpr10_vgpr11_vgpr12_vgpr13_vgpr14_vgpr15_vgpr16_vgpr17_vgpr18_vgpr19_vgpr20_vgpr21_vgpr22_vgpr23_vgpr24_vgpr25_vgpr26_vgpr27_vgpr28_vgpr29_vgpr30_vgpr31
                                        ; implicit-def: $vgpr0_vgpr1_vgpr2_vgpr3_vgpr4_vgpr5_vgpr6_vgpr7_vgpr8_vgpr9_vgpr10_vgpr11_vgpr12_vgpr13_vgpr14_vgpr15_vgpr16_vgpr17_vgpr18_vgpr19_vgpr20_vgpr21_vgpr22_vgpr23_vgpr24_vgpr25_vgpr26_vgpr27_vgpr28_vgpr29_vgpr30_vgpr31
                                        ; kill: killed $vgpr0_vgpr1_vgpr2_vgpr3_vgpr4_vgpr5_vgpr6_vgpr7_vgpr8_vgpr9_vgpr10_vgpr11_vgpr12_vgpr13_vgpr14_vgpr15_vgpr16_vgpr17_vgpr18_vgpr19_vgpr20_vgpr21_vgpr22_vgpr23_vgpr24_vgpr25_vgpr26_vgpr27_vgpr28_vgpr29_vgpr30_vgpr31
                                        ; implicit-def: $vgpr0_vgpr1_vgpr2_vgpr3_vgpr4_vgpr5_vgpr6_vgpr7_vgpr8_vgpr9_vgpr10_vgpr11_vgpr12_vgpr13_vgpr14_vgpr15_vgpr16_vgpr17_vgpr18_vgpr19_vgpr20_vgpr21_vgpr22_vgpr23_vgpr24_vgpr25_vgpr26_vgpr27_vgpr28_vgpr29_vgpr30_vgpr31
                                        ; kill: killed $vgpr0_vgpr1_vgpr2_vgpr3_vgpr4_vgpr5_vgpr6_vgpr7_vgpr8_vgpr9_vgpr10_vgpr11_vgpr12_vgpr13_vgpr14_vgpr15_vgpr16_vgpr17_vgpr18_vgpr19_vgpr20_vgpr21_vgpr22_vgpr23_vgpr24_vgpr25_vgpr26_vgpr27_vgpr28_vgpr29_vgpr30_vgpr31
	s_mov_b32 exec_lo, s1
	s_cbranch_execz .LBB4_10
; %bb.9:
	v_lshl_add_u32 v0, v74, 3, 16
	v_lshl_add_u32 v2, v247, 3, 16
	;; [unrolled: 1-line block ×4, first 2 shown]
	s_movk_i32 s5, 0x10f8
	s_clause 0x3
	scratch_load_b64 v[0:1], v0, off
	scratch_load_b64 v[2:3], v2, off
	;; [unrolled: 1-line block ×4, first 2 shown]
	scratch_load_b64 v[48:49], off, s5      ; 8-byte Folded Reload
	s_movk_i32 s5, 0x1100
	s_movk_i32 s6, 0x10f0
	scratch_load_b64 v[50:51], off, s5      ; 8-byte Folded Reload
	scratch_load_b64 v[46:47], off, s6      ; 8-byte Folded Reload
	v_dual_mov_b32 v44, v77 :: v_dual_mov_b32 v45, v78
	v_cmp_eq_u32_e64 s1, 1, v74
	v_cmp_eq_u32_e64 s3, 2, v247
	v_dual_mov_b32 v52, v100 :: v_dual_mov_b32 v53, v101
	v_cmp_eq_u32_e64 s2, 2, v74
	v_cmp_eq_u32_e64 s4, 1, v250
	;; [unrolled: 1-line block ×3, first 2 shown]
	v_cndmask_b32_e64 v22, v44, v104, s1
	v_cndmask_b32_e64 v29, v252, v254, s1
	;; [unrolled: 1-line block ×10, first 2 shown]
	v_cmp_eq_u32_e64 s6, 4, v74
	v_cmp_eq_u32_e64 s7, 5, v74
	;; [unrolled: 1-line block ×9, first 2 shown]
	v_mov_b32_e32 v76, 4
                                        ; implicit-def: $vgpr185_vgpr186_vgpr187_vgpr188_vgpr189_vgpr190_vgpr191_vgpr192_vgpr193_vgpr194_vgpr195_vgpr196_vgpr197_vgpr198_vgpr199_vgpr200_vgpr201_vgpr202_vgpr203_vgpr204_vgpr205_vgpr206_vgpr207_vgpr208_vgpr209_vgpr210_vgpr211_vgpr212_vgpr213_vgpr214_vgpr215_vgpr216
                                        ; implicit-def: $vgpr213_vgpr214_vgpr215_vgpr216_vgpr217_vgpr218_vgpr219_vgpr220_vgpr221_vgpr222_vgpr223_vgpr224_vgpr225_vgpr226_vgpr227_vgpr228_vgpr229_vgpr230_vgpr231_vgpr232_vgpr233_vgpr234_vgpr235_vgpr236_vgpr237_vgpr238_vgpr239_vgpr240_vgpr241_vgpr242_vgpr243_vgpr244
	v_mov_b32_e32 v75, 3
	s_waitcnt vmcnt(6)
	v_add_f64 v[8:9], -v[0:1], 0
	s_waitcnt vmcnt(5)
	v_add_f64 v[10:11], v[2:3], -v[0:1]
	s_waitcnt vmcnt(4)
	v_add_f64 v[0:1], -v[4:5], 0
	s_waitcnt vmcnt(3)
	v_add_f64 v[2:3], v[6:7], -v[4:5]
	s_waitcnt vmcnt(1)
	v_cndmask_b32_e64 v26, v50, v48, s1
	v_cndmask_b32_e64 v37, v51, v49, s4
	;; [unrolled: 1-line block ×4, first 2 shown]
	v_div_scale_f64 v[12:13], null, v[10:11], v[10:11], v[8:9]
	v_div_scale_f64 v[6:7], null, v[2:3], v[2:3], v[0:1]
	v_div_scale_f64 v[18:19], vcc_lo, v[8:9], v[10:11], v[8:9]
	s_delay_alu instid0(VALU_DEP_3) | instskip(SKIP_2) | instid1(VALU_DEP_1)
	v_rcp_f64_e32 v[14:15], v[12:13]
	s_waitcnt_depctr 0xfff
	v_fma_f64 v[16:17], -v[12:13], v[14:15], 1.0
	v_fma_f64 v[4:5], v[14:15], v[16:17], v[14:15]
	v_rcp_f64_e32 v[16:17], v[6:7]
	s_delay_alu instid0(VALU_DEP_1) | instskip(NEXT) | instid1(VALU_DEP_1)
	v_fma_f64 v[14:15], -v[12:13], v[4:5], 1.0
	v_fma_f64 v[4:5], v[4:5], v[14:15], v[4:5]
	s_waitcnt_depctr 0xfff
	v_fma_f64 v[14:15], -v[6:7], v[16:17], 1.0
	v_mul_f64 v[20:21], v[18:19], v[4:5]
	s_delay_alu instid0(VALU_DEP_2) | instskip(NEXT) | instid1(VALU_DEP_2)
	v_fma_f64 v[14:15], v[16:17], v[14:15], v[16:17]
	v_fma_f64 v[12:13], -v[12:13], v[20:21], v[18:19]
	s_delay_alu instid0(VALU_DEP_2) | instskip(SKIP_2) | instid1(VALU_DEP_4)
	v_fma_f64 v[16:17], -v[6:7], v[14:15], 1.0
	v_cndmask_b32_e64 v18, v45, v105, s4
	v_cmp_eq_u32_e64 s4, 3, v247
	v_div_fmas_f64 v[4:5], v[12:13], v[4:5], v[20:21]
	v_cmp_eq_u32_e32 vcc_lo, 1, v247
	v_cndmask_b32_e64 v13, v45, v105, s1
	v_fma_f64 v[14:15], v[14:15], v[16:17], v[14:15]
	v_cmp_eq_u32_e64 s1, 2, v250
	v_dual_cndmask_b32 v12, v45, v105 :: v_dual_cndmask_b32 v27, v252, v254
	v_dual_cndmask_b32 v20, v44, v104 :: v_dual_cndmask_b32 v23, v51, v49
	v_cndmask_b32_e64 v21, v13, v53, s2
	s_delay_alu instid0(VALU_DEP_3)
	v_cndmask_b32_e64 v19, v12, v53, s3
	v_dual_cndmask_b32 v24, v50, v48 :: v_dual_cndmask_b32 v31, v249, v167
	v_cndmask_b32_e32 v28, v251, v253, vcc_lo
	v_cndmask_b32_e32 v32, v248, v166, vcc_lo
	v_div_scale_f64 v[12:13], vcc_lo, v[0:1], v[2:3], v[0:1]
	s_waitcnt vmcnt(0)
	v_cndmask_b32_e64 v16, v23, v47, s3
	v_cndmask_b32_e64 v17, v24, v46, s3
	;; [unrolled: 1-line block ×5, first 2 shown]
	v_div_fixup_f64 v[4:5], v[4:5], v[10:11], v[8:9]
	v_cndmask_b32_e64 v8, v19, s0, s4
	v_cndmask_b32_e64 v9, v20, v52, s3
	;; [unrolled: 1-line block ×8, first 2 shown]
	v_cmp_eq_u32_e64 s3, 4, v247
	v_cndmask_b32_e64 v11, v22, v52, s2
	v_cndmask_b32_e64 v25, v9, s0, s4
	;; [unrolled: 1-line block ×6, first 2 shown]
	v_mul_f64 v[8:9], v[12:13], v[14:15]
	v_cndmask_b32_e64 v28, v33, v165, s2
	v_cndmask_b32_e64 v31, v16, s0, s4
	;; [unrolled: 1-line block ×21, first 2 shown]
	v_add_f64 v[10:11], -v[4:5], 1.0
	v_cndmask_b32_e64 v17, v20, s0, s10
	v_cndmask_b32_e64 v20, v21, s0, s9
	;; [unrolled: 1-line block ×9, first 2 shown]
	s_delay_alu instid0(VALU_DEP_2) | instskip(NEXT) | instid1(VALU_DEP_2)
	v_cndmask_b32_e64 v18, v18, s0, s8
	v_cndmask_b32_e64 v19, v19, s0, s8
	v_fma_f64 v[6:7], -v[6:7], v[8:9], v[12:13]
	s_delay_alu instid0(VALU_DEP_3) | instskip(NEXT) | instid1(VALU_DEP_3)
	v_cndmask_b32_e64 v23, v18, s0, s9
	v_cndmask_b32_e64 v29, v19, s0, s9
	;; [unrolled: 1-line block ×11, first 2 shown]
	s_delay_alu instid0(VALU_DEP_4) | instskip(NEXT) | instid1(VALU_DEP_4)
	v_cndmask_b32_e64 v23, v23, s0, s11
	v_cndmask_b32_e64 v24, v24, s0, s11
	s_delay_alu instid0(VALU_DEP_4) | instskip(NEXT) | instid1(VALU_DEP_4)
	v_cndmask_b32_e64 v22, v22, s0, s13
	v_cndmask_b32_e64 v25, v25, s0, s11
	;; [unrolled: 3-line block ×3, first 2 shown]
	v_mul_f64 v[12:13], v[16:17], v[10:11]
	v_mul_f64 v[16:17], v[18:19], v[10:11]
	;; [unrolled: 1-line block ×3, first 2 shown]
	v_cndmask_b32_e64 v20, v32, s0, s3
	v_cndmask_b32_e64 v21, v33, s0, s3
	;; [unrolled: 1-line block ×3, first 2 shown]
	s_delay_alu instid0(VALU_DEP_3) | instskip(NEXT) | instid1(VALU_DEP_3)
	v_cndmask_b32_e64 v20, v20, s0, s11
	v_cndmask_b32_e64 v21, v21, s0, s11
	s_delay_alu instid0(VALU_DEP_3) | instskip(NEXT) | instid1(VALU_DEP_3)
	v_cndmask_b32_e64 v30, v25, s0, s13
	v_cndmask_b32_e64 v20, v20, s0, s12
	s_delay_alu instid0(VALU_DEP_3)
	v_cndmask_b32_e64 v29, v21, s0, s12
	v_cndmask_b32_e64 v21, v22, s0, s14
	;; [unrolled: 1-line block ×5, first 2 shown]
	v_div_fmas_f64 v[8:9], v[6:7], v[14:15], v[8:9]
	v_cndmask_b32_e64 v14, v26, s0, s4
	v_cndmask_b32_e64 v20, v22, s0, s14
	;; [unrolled: 1-line block ×11, first 2 shown]
	v_cmp_eq_u32_e32 vcc_lo, 3, v250
	v_cndmask_b32_e64 v15, v15, s0, s11
	v_cmp_eq_u32_e64 s3, 6, v250
	v_cmp_eq_u32_e64 s4, 7, v250
	v_cndmask_b32_e64 v14, v14, s0, s12
	s_delay_alu instid0(VALU_DEP_4)
	v_cndmask_b32_e64 v15, v15, s0, s12
	v_fma_f64 v[31:32], v[20:21], v[4:5], v[12:13]
	v_cndmask_b32_e64 v12, v34, v164, s2
	v_cndmask_b32_e64 v13, v28, s0, s5
	v_fma_f64 v[29:30], v[22:23], v[4:5], v[16:17]
	v_cndmask_b32_e64 v14, v14, s0, s13
	v_cndmask_b32_e64 v23, v15, s0, s13
	;; [unrolled: 1-line block ×9, first 2 shown]
	v_fma_f64 v[175:176], v[24:25], v[4:5], v[18:19]
	v_cndmask_b32_e64 v21, v41, v165, s1
	v_cndmask_b32_e64 v22, v42, v164, s1
	;; [unrolled: 1-line block ×5, first 2 shown]
	v_div_fixup_f64 v[0:1], v[8:9], v[2:3], v[0:1]
	v_cndmask_b32_e64 v18, v38, v46, s1
	v_cndmask_b32_e64 v12, v12, s0, s8
	;; [unrolled: 1-line block ×5, first 2 shown]
	v_cmp_eq_u32_e64 s1, 4, v250
	v_cndmask_b32_e64 v12, v12, s0, s9
	v_cndmask_b32_e64 v13, v13, s0, s10
	v_cmp_eq_u32_e64 s2, 5, v250
	v_cmp_eq_u32_e64 s5, 8, v250
	;; [unrolled: 1-line block ×3, first 2 shown]
	v_cndmask_b32_e64 v12, v12, s0, s10
	v_cmp_eq_u32_e64 s7, 8, v255
	s_delay_alu instid0(VALU_DEP_2) | instskip(SKIP_2) | instid1(VALU_DEP_2)
	v_mul_f64 v[2:3], v[12:13], v[10:11]
	v_dual_cndmask_b32 v8, v35, v32 :: v_dual_cndmask_b32 v9, v16, v31
	v_cndmask_b32_e32 v11, v18, v29, vcc_lo
	v_cndmask_b32_e64 v9, v9, s0, s1
	s_delay_alu instid0(VALU_DEP_2) | instskip(NEXT) | instid1(VALU_DEP_2)
	v_cndmask_b32_e64 v11, v11, s0, s1
	v_cndmask_b32_e64 v9, v9, s0, s2
	v_dual_cndmask_b32 v13, v20, v175 :: v_dual_cndmask_b32 v12, v19, v176
	v_cndmask_b32_e64 v8, v8, s0, s1
	s_delay_alu instid0(VALU_DEP_4) | instskip(NEXT) | instid1(VALU_DEP_4)
	v_cndmask_b32_e64 v11, v11, s0, s2
	v_cndmask_b32_e64 v9, v9, s0, s3
	s_delay_alu instid0(VALU_DEP_4) | instskip(NEXT) | instid1(VALU_DEP_4)
	v_cndmask_b32_e64 v13, v13, s0, s1
	;; [unrolled: 3-line block ×4, first 2 shown]
	v_cndmask_b32_e64 v8, v8, s0, s3
	s_delay_alu instid0(VALU_DEP_2) | instskip(NEXT) | instid1(VALU_DEP_2)
	v_cndmask_b32_e64 v13, v13, s0, s3
	v_cndmask_b32_e64 v8, v8, s0, s4
	s_delay_alu instid0(VALU_DEP_2) | instskip(NEXT) | instid1(VALU_DEP_2)
	v_cndmask_b32_e64 v18, v13, s0, s4
	v_cndmask_b32_e64 v9, v8, s0, s5
	v_fma_f64 v[115:116], v[14:15], v[4:5], v[2:3]
	v_cndmask_b32_e32 v10, v17, v30, vcc_lo
	v_cndmask_b32_e64 v17, v11, s0, s4
	v_cndmask_b32_e64 v8, v16, s0, s5
	s_delay_alu instid0(VALU_DEP_4) | instskip(SKIP_3) | instid1(VALU_DEP_4)
	v_dual_cndmask_b32 v3, v22, v115 :: v_dual_cndmask_b32 v2, v21, v116
	v_cmp_eq_u32_e32 vcc_lo, 1, v255
	v_mov_b32_e32 v14, v31
	v_cndmask_b32_e64 v10, v10, s0, s1
	v_cndmask_b32_e64 v3, v3, s0, s1
	;; [unrolled: 1-line block ×3, first 2 shown]
	v_mov_b32_e32 v15, v32
	v_cndmask_b32_e64 v12, v12, s0, s1
	v_cndmask_b32_e64 v10, v10, s0, s2
	v_cndmask_b32_e64 v3, v3, s0, s2
	v_cndmask_b32_e64 v2, v2, s0, s2
	v_cmp_eq_u32_e64 s1, 2, v255
	v_cndmask_b32_e64 v12, v12, s0, s2
	v_cndmask_b32_e64 v10, v10, s0, s3
	v_cndmask_b32_e64 v3, v3, s0, s3
	v_cndmask_b32_e64 v2, v2, s0, s3
	v_cmp_eq_u32_e64 s2, 3, v255
	;; [unrolled: 5-line block ×3, first 2 shown]
	v_cndmask_b32_e64 v12, v12, s0, s4
	v_cndmask_b32_e64 v11, v10, s0, s5
	;; [unrolled: 1-line block ×5, first 2 shown]
	v_add_f64 v[4:5], -v[0:1], 1.0
	v_cndmask_b32_e64 v13, v12, s0, s5
	v_cndmask_b32_e64 v12, v18, s0, s5
	v_cmp_eq_u32_e64 s4, 5, v255
	v_cmp_eq_u32_e64 s5, 6, v255
	v_mul_f64 v[8:9], v[4:5], v[8:9]
	v_mul_f64 v[10:11], v[4:5], v[10:11]
	v_mul_f64 v[12:13], v[4:5], v[12:13]
	v_mul_f64 v[2:3], v[4:5], v[2:3]
	v_dual_mov_b32 v4, 5 :: v_dual_cndmask_b32 v5, v44, v104
	scratch_store_b32 off, v4, off offset:100
	v_cndmask_b32_e32 v4, v45, v105, vcc_lo
	v_cndmask_b32_e64 v5, v5, v52, s1
	s_delay_alu instid0(VALU_DEP_2) | instskip(NEXT) | instid1(VALU_DEP_1)
	v_cndmask_b32_e64 v4, v4, v53, s1
	v_cndmask_b32_e64 v4, v4, v32, s2
	s_clause 0x7
	scratch_store_b128 off, v[8:11], off offset:2032
	scratch_store_b128 off, v[12:15], off offset:2048
	;; [unrolled: 1-line block ×8, first 2 shown]
	v_cndmask_b32_e32 v15, v50, v48, vcc_lo
	v_cndmask_b32_e64 v4, v4, s0, s3
	s_delay_alu instid0(VALU_DEP_2) | instskip(NEXT) | instid1(VALU_DEP_2)
	v_cndmask_b32_e64 v15, v15, v46, s1
	v_cndmask_b32_e64 v4, v4, s0, s4
	s_delay_alu instid0(VALU_DEP_1) | instskip(NEXT) | instid1(VALU_DEP_1)
	v_cndmask_b32_e64 v4, v4, s0, s5
	v_cndmask_b32_e64 v4, v4, s0, s6
	;; [unrolled: 1-line block ×3, first 2 shown]
	v_dual_mov_b32 v16, v29 :: v_dual_mov_b32 v17, v30
	s_delay_alu instid0(VALU_DEP_2) | instskip(NEXT) | instid1(VALU_DEP_1)
	v_cndmask_b32_e64 v5, v5, s0, s3
	v_cndmask_b32_e64 v5, v5, s0, s4
	s_delay_alu instid0(VALU_DEP_1) | instskip(NEXT) | instid1(VALU_DEP_1)
	v_cndmask_b32_e64 v5, v5, s0, s5
	v_cndmask_b32_e64 v14, v5, s0, s6
	;; [unrolled: 1-line block ×3, first 2 shown]
	s_delay_alu instid0(VALU_DEP_2) | instskip(SKIP_1) | instid1(VALU_DEP_2)
	v_cndmask_b32_e64 v4, v14, s0, s7
	v_cndmask_b32_e32 v14, v51, v49, vcc_lo
	v_fma_f64 v[50:51], v[0:1], v[4:5], v[8:9]
	s_delay_alu instid0(VALU_DEP_2) | instskip(NEXT) | instid1(VALU_DEP_1)
	v_cndmask_b32_e64 v14, v14, v47, s1
	v_cndmask_b32_e64 v14, v14, v30, s2
	s_clause 0x7
	scratch_store_b128 off, v[10:13], off offset:112
	scratch_store_b128 off, v[14:17], off offset:128
	;; [unrolled: 1-line block ×8, first 2 shown]
	v_cndmask_b32_e32 v17, v251, v253, vcc_lo
	v_cndmask_b32_e32 v19, v248, v166, vcc_lo
	s_delay_alu instid0(VALU_DEP_2) | instskip(NEXT) | instid1(VALU_DEP_2)
	v_cndmask_b32_e64 v17, v17, v245, s1
	v_cndmask_b32_e64 v19, v19, v164, s1
	s_delay_alu instid0(VALU_DEP_2) | instskip(NEXT) | instid1(VALU_DEP_2)
	v_cndmask_b32_e64 v17, v17, v175, s2
	v_cndmask_b32_e64 v19, v19, v115, s2
	;; [unrolled: 3-line block ×6, first 2 shown]
	v_cndmask_b32_e64 v15, v15, v29, s2
	v_cndmask_b32_e64 v14, v14, s0, s3
	s_delay_alu instid0(VALU_DEP_2) | instskip(NEXT) | instid1(VALU_DEP_2)
	v_cndmask_b32_e64 v15, v15, s0, s3
	v_cndmask_b32_e64 v14, v14, s0, s4
	s_delay_alu instid0(VALU_DEP_2) | instskip(NEXT) | instid1(VALU_DEP_2)
	;; [unrolled: 3-line block ×4, first 2 shown]
	v_cndmask_b32_e64 v16, v15, s0, s6
	v_cndmask_b32_e64 v15, v14, s0, s7
	s_delay_alu instid0(VALU_DEP_2) | instskip(SKIP_1) | instid1(VALU_DEP_2)
	v_cndmask_b32_e64 v14, v16, s0, s7
	v_cndmask_b32_e32 v16, v252, v254, vcc_lo
	v_fma_f64 v[8:9], v[0:1], v[14:15], v[10:11]
	s_delay_alu instid0(VALU_DEP_2) | instskip(NEXT) | instid1(VALU_DEP_1)
	v_cndmask_b32_e64 v16, v16, v246, s1
	v_cndmask_b32_e64 v16, v16, v176, s2
	s_delay_alu instid0(VALU_DEP_1) | instskip(NEXT) | instid1(VALU_DEP_1)
	v_cndmask_b32_e64 v16, v16, s0, s3
	v_cndmask_b32_e64 v16, v16, s0, s4
	s_delay_alu instid0(VALU_DEP_1) | instskip(NEXT) | instid1(VALU_DEP_1)
	v_cndmask_b32_e64 v16, v16, s0, s5
	v_cndmask_b32_e64 v16, v16, s0, s6
	s_delay_alu instid0(VALU_DEP_1) | instskip(SKIP_2) | instid1(VALU_DEP_1)
	v_cndmask_b32_e64 v17, v16, s0, s7
	v_cndmask_b32_e64 v16, v18, s0, s7
	v_cndmask_b32_e32 v18, v249, v167, vcc_lo
	v_cndmask_b32_e64 v18, v18, v165, s1
	s_delay_alu instid0(VALU_DEP_1) | instskip(NEXT) | instid1(VALU_DEP_1)
	v_cndmask_b32_e64 v18, v18, v116, s2
	v_cndmask_b32_e64 v18, v18, s0, s3
	s_delay_alu instid0(VALU_DEP_1) | instskip(NEXT) | instid1(VALU_DEP_1)
	v_cndmask_b32_e64 v18, v18, s0, s4
	;; [unrolled: 3-line block ×3, first 2 shown]
	v_cndmask_b32_e64 v19, v18, s0, s7
	v_cndmask_b32_e64 v18, v20, s0, s7
	s_clause 0x7
	scratch_store_b128 off, v[0:3], off offset:240
	scratch_store_b128 off, v[4:7], off offset:256
	;; [unrolled: 1-line block ×8, first 2 shown]
	v_fma_f64 v[135:136], v[0:1], v[16:17], v[12:13]
	v_fma_f64 v[125:126], v[0:1], v[18:19], v[2:3]
                                        ; implicit-def: $vgpr0_vgpr1_vgpr2_vgpr3_vgpr4_vgpr5_vgpr6_vgpr7_vgpr8_vgpr9_vgpr10_vgpr11_vgpr12_vgpr13_vgpr14_vgpr15_vgpr16_vgpr17_vgpr18_vgpr19_vgpr20_vgpr21_vgpr22_vgpr23_vgpr24_vgpr25_vgpr26_vgpr27_vgpr28_vgpr29_vgpr30_vgpr31
                                        ; kill: killed $vgpr0_vgpr1_vgpr2_vgpr3_vgpr4_vgpr5_vgpr6_vgpr7_vgpr8_vgpr9_vgpr10_vgpr11_vgpr12_vgpr13_vgpr14_vgpr15_vgpr16_vgpr17_vgpr18_vgpr19_vgpr20_vgpr21_vgpr22_vgpr23_vgpr24_vgpr25_vgpr26_vgpr27_vgpr28_vgpr29_vgpr30_vgpr31
                                        ; implicit-def: $vgpr0_vgpr1_vgpr2_vgpr3_vgpr4_vgpr5_vgpr6_vgpr7_vgpr8_vgpr9_vgpr10_vgpr11_vgpr12_vgpr13_vgpr14_vgpr15_vgpr16_vgpr17_vgpr18_vgpr19_vgpr20_vgpr21_vgpr22_vgpr23_vgpr24_vgpr25_vgpr26_vgpr27_vgpr28_vgpr29_vgpr30_vgpr31
                                        ; kill: killed $vgpr0_vgpr1_vgpr2_vgpr3_vgpr4_vgpr5_vgpr6_vgpr7_vgpr8_vgpr9_vgpr10_vgpr11_vgpr12_vgpr13_vgpr14_vgpr15_vgpr16_vgpr17_vgpr18_vgpr19_vgpr20_vgpr21_vgpr22_vgpr23_vgpr24_vgpr25_vgpr26_vgpr27_vgpr28_vgpr29_vgpr30_vgpr31
	;; [unrolled: 2-line block ×22, first 2 shown]
                                        ; implicit-def: $vgpr18_vgpr19_vgpr20_vgpr21_vgpr22_vgpr23_vgpr24_vgpr25_vgpr26_vgpr27_vgpr28_vgpr29_vgpr30_vgpr31_vgpr32_vgpr33_vgpr34_vgpr35_vgpr36_vgpr37_vgpr38_vgpr39_vgpr40_vgpr41_vgpr42_vgpr43_vgpr44_vgpr45_vgpr46_vgpr47_vgpr48_vgpr49
                                        ; kill: killed $vgpr18_vgpr19_vgpr20_vgpr21_vgpr22_vgpr23_vgpr24_vgpr25_vgpr26_vgpr27_vgpr28_vgpr29_vgpr30_vgpr31_vgpr32_vgpr33_vgpr34_vgpr35_vgpr36_vgpr37_vgpr38_vgpr39_vgpr40_vgpr41_vgpr42_vgpr43_vgpr44_vgpr45_vgpr46_vgpr47_vgpr48_vgpr49
                                        ; implicit-def: $vgpr8_vgpr9_vgpr10_vgpr11_vgpr12_vgpr13_vgpr14_vgpr15_vgpr16_vgpr17_vgpr18_vgpr19_vgpr20_vgpr21_vgpr22_vgpr23_vgpr24_vgpr25_vgpr26_vgpr27_vgpr28_vgpr29_vgpr30_vgpr31_vgpr32_vgpr33_vgpr34_vgpr35_vgpr36_vgpr37_vgpr38_vgpr39
                                        ; kill: killed $vgpr8_vgpr9_vgpr10_vgpr11_vgpr12_vgpr13_vgpr14_vgpr15_vgpr16_vgpr17_vgpr18_vgpr19_vgpr20_vgpr21_vgpr22_vgpr23_vgpr24_vgpr25_vgpr26_vgpr27_vgpr28_vgpr29_vgpr30_vgpr31_vgpr32_vgpr33_vgpr34_vgpr35_vgpr36_vgpr37_vgpr38_vgpr39
                                        ; implicit-def: $vgpr18_vgpr19_vgpr20_vgpr21_vgpr22_vgpr23_vgpr24_vgpr25_vgpr26_vgpr27_vgpr28_vgpr29_vgpr30_vgpr31_vgpr32_vgpr33_vgpr34_vgpr35_vgpr36_vgpr37_vgpr38_vgpr39_vgpr40_vgpr41_vgpr42_vgpr43_vgpr44_vgpr45_vgpr46_vgpr47_vgpr48_vgpr49
                                        ; kill: killed $vgpr18_vgpr19_vgpr20_vgpr21_vgpr22_vgpr23_vgpr24_vgpr25_vgpr26_vgpr27_vgpr28_vgpr29_vgpr30_vgpr31_vgpr32_vgpr33_vgpr34_vgpr35_vgpr36_vgpr37_vgpr38_vgpr39_vgpr40_vgpr41_vgpr42_vgpr43_vgpr44_vgpr45_vgpr46_vgpr47_vgpr48_vgpr49
                                        ; implicit-def: $vgpr0_vgpr1_vgpr2_vgpr3_vgpr4_vgpr5_vgpr6_vgpr7_vgpr8_vgpr9_vgpr10_vgpr11_vgpr12_vgpr13_vgpr14_vgpr15_vgpr16_vgpr17_vgpr18_vgpr19_vgpr20_vgpr21_vgpr22_vgpr23_vgpr24_vgpr25_vgpr26_vgpr27_vgpr28_vgpr29_vgpr30_vgpr31
	v_dual_mov_b32 v42, v50 :: v_dual_mov_b32 v43, v51
                                        ; kill: killed $vgpr0_vgpr1_vgpr2_vgpr3_vgpr4_vgpr5_vgpr6_vgpr7_vgpr8_vgpr9_vgpr10_vgpr11_vgpr12_vgpr13_vgpr14_vgpr15_vgpr16_vgpr17_vgpr18_vgpr19_vgpr20_vgpr21_vgpr22_vgpr23_vgpr24_vgpr25_vgpr26_vgpr27_vgpr28_vgpr29_vgpr30_vgpr31
                                        ; implicit-def: $vgpr8_vgpr9_vgpr10_vgpr11_vgpr12_vgpr13_vgpr14_vgpr15_vgpr16_vgpr17_vgpr18_vgpr19_vgpr20_vgpr21_vgpr22_vgpr23_vgpr24_vgpr25_vgpr26_vgpr27_vgpr28_vgpr29_vgpr30_vgpr31_vgpr32_vgpr33_vgpr34_vgpr35_vgpr36_vgpr37_vgpr38_vgpr39
                                        ; kill: killed $vgpr8_vgpr9_vgpr10_vgpr11_vgpr12_vgpr13_vgpr14_vgpr15_vgpr16_vgpr17_vgpr18_vgpr19_vgpr20_vgpr21_vgpr22_vgpr23_vgpr24_vgpr25_vgpr26_vgpr27_vgpr28_vgpr29_vgpr30_vgpr31_vgpr32_vgpr33_vgpr34_vgpr35_vgpr36_vgpr37_vgpr38_vgpr39
                                        ; implicit-def: $vgpr0_vgpr1_vgpr2_vgpr3_vgpr4_vgpr5_vgpr6_vgpr7_vgpr8_vgpr9_vgpr10_vgpr11_vgpr12_vgpr13_vgpr14_vgpr15_vgpr16_vgpr17_vgpr18_vgpr19_vgpr20_vgpr21_vgpr22_vgpr23_vgpr24_vgpr25_vgpr26_vgpr27_vgpr28_vgpr29_vgpr30_vgpr31
                                        ; kill: killed $vgpr0_vgpr1_vgpr2_vgpr3_vgpr4_vgpr5_vgpr6_vgpr7_vgpr8_vgpr9_vgpr10_vgpr11_vgpr12_vgpr13_vgpr14_vgpr15_vgpr16_vgpr17_vgpr18_vgpr19_vgpr20_vgpr21_vgpr22_vgpr23_vgpr24_vgpr25_vgpr26_vgpr27_vgpr28_vgpr29_vgpr30_vgpr31
                                        ; implicit-def: $vgpr8_vgpr9_vgpr10_vgpr11_vgpr12_vgpr13_vgpr14_vgpr15_vgpr16_vgpr17_vgpr18_vgpr19_vgpr20_vgpr21_vgpr22_vgpr23_vgpr24_vgpr25_vgpr26_vgpr27_vgpr28_vgpr29_vgpr30_vgpr31_vgpr32_vgpr33_vgpr34_vgpr35_vgpr36_vgpr37_vgpr38_vgpr39
                                        ; kill: killed $vgpr8_vgpr9_vgpr10_vgpr11_vgpr12_vgpr13_vgpr14_vgpr15_vgpr16_vgpr17_vgpr18_vgpr19_vgpr20_vgpr21_vgpr22_vgpr23_vgpr24_vgpr25_vgpr26_vgpr27_vgpr28_vgpr29_vgpr30_vgpr31_vgpr32_vgpr33_vgpr34_vgpr35_vgpr36_vgpr37_vgpr38_vgpr39
                                        ; implicit-def: $vgpr0_vgpr1_vgpr2_vgpr3_vgpr4_vgpr5_vgpr6_vgpr7_vgpr8_vgpr9_vgpr10_vgpr11_vgpr12_vgpr13_vgpr14_vgpr15_vgpr16_vgpr17_vgpr18_vgpr19_vgpr20_vgpr21_vgpr22_vgpr23_vgpr24_vgpr25_vgpr26_vgpr27_vgpr28_vgpr29_vgpr30_vgpr31
                                        ; kill: killed $vgpr0_vgpr1_vgpr2_vgpr3_vgpr4_vgpr5_vgpr6_vgpr7_vgpr8_vgpr9_vgpr10_vgpr11_vgpr12_vgpr13_vgpr14_vgpr15_vgpr16_vgpr17_vgpr18_vgpr19_vgpr20_vgpr21_vgpr22_vgpr23_vgpr24_vgpr25_vgpr26_vgpr27_vgpr28_vgpr29_vgpr30_vgpr31
.LBB4_10:
	s_or_b32 exec_lo, exec_lo, s16
	s_movk_i32 s2, 0x1188
	scratch_store_b32 off, v66, off offset:96
	scratch_load_b64 v[119:120], off, s2    ; 8-byte Folded Reload
	s_clause 0x7
	scratch_load_b128 v[10:13], off, off offset:2032
	scratch_load_b128 v[14:17], off, off offset:2048
	;; [unrolled: 1-line block ×8, first 2 shown]
	v_mov_b32_e32 v110, v78
	v_dual_mov_b32 v0, 0 :: v_dual_mov_b32 v109, v77
	s_mov_b32 s1, 0
	s_set_inst_prefetch_distance 0x1
	s_branch .LBB4_12
	.p2align	6
.LBB4_11:                               ;   in Loop: Header=BB4_12 Depth=1
	s_or_b32 exec_lo, exec_lo, s3
	s_waitcnt vmcnt(0)
	v_cmp_gt_i32_e32 vcc_lo, 0, v1
	v_mov_b32_e32 v0, v1
	s_or_b32 s1, vcc_lo, s1
	s_delay_alu instid0(SALU_CYCLE_1)
	s_and_not1_b32 exec_lo, exec_lo, s1
	s_cbranch_execz .LBB4_18
.LBB4_12:                               ; =>This Inner Loop Header: Depth=1
	s_delay_alu instid0(VALU_DEP_1) | instskip(SKIP_2) | instid1(VALU_DEP_1)
	v_lshlrev_b32_e32 v1, 2, v0
	s_mov_b32 s2, 0
	s_mov_b32 s3, exec_lo
                                        ; implicit-def: $vgpr2
	v_add_nc_u32_e32 v3, 16, v1
	s_delay_alu instid0(VALU_DEP_1)
	v_add_nc_u32_e32 v1, v3, v1
	s_clause 0x1
	scratch_load_b64 v[4:5], v1, off
	scratch_load_b32 v1, v3, off offset:40
	s_waitcnt vmcnt(1)
	v_cmpx_ngt_f64_e32 0, v[4:5]
	s_xor_b32 s3, exec_lo, s3
	s_cbranch_execnz .LBB4_15
; %bb.13:                               ;   in Loop: Header=BB4_12 Depth=1
	s_and_not1_saveexec_b32 s3, s3
	s_cbranch_execnz .LBB4_16
.LBB4_14:                               ;   in Loop: Header=BB4_12 Depth=1
	s_or_b32 exec_lo, exec_lo, s3
	s_and_saveexec_b32 s3, s2
	s_cbranch_execz .LBB4_11
	s_branch .LBB4_17
.LBB4_15:                               ;   in Loop: Header=BB4_12 Depth=1
	scratch_load_b32 v2, off, off offset:96
                                        ; implicit-def: $vgpr3
	s_waitcnt vmcnt(0)
	v_cmp_eq_u32_e32 vcc_lo, -1, v2
	v_mov_b32_e32 v2, 0x60
	s_and_b32 s2, vcc_lo, exec_lo
	s_and_not1_saveexec_b32 s3, s3
	s_cbranch_execz .LBB4_14
.LBB4_16:                               ;   in Loop: Header=BB4_12 Depth=1
	scratch_load_b32 v4, off, off offset:100
	v_mov_b32_e32 v2, 0x64
	s_or_b32 s2, s2, exec_lo
	s_waitcnt vmcnt(0)
	scratch_store_b32 v3, v4, off offset:40
	s_or_b32 exec_lo, exec_lo, s3
	s_and_saveexec_b32 s3, s2
	s_cbranch_execz .LBB4_11
.LBB4_17:                               ;   in Loop: Header=BB4_12 Depth=1
	scratch_store_b32 v2, v0, off
	s_branch .LBB4_11
.LBB4_18:
	s_set_inst_prefetch_distance 0x2
	s_or_b32 exec_lo, exec_lo, s1
	s_and_saveexec_b32 s1, s0
; %bb.19:
	v_cmp_gt_f64_e32 vcc_lo, 0, v[79:80]
	v_lshlrev_b32_e32 v0, 2, v247
	v_lshlrev_b32_e32 v1, 2, v75
	;; [unrolled: 1-line block ×3, first 2 shown]
	s_delay_alu instid0(VALU_DEP_3) | instskip(NEXT) | instid1(VALU_DEP_3)
	v_add3_u32 v0, 16, v0, 40
	v_add3_u32 v1, 16, v1, 40
	s_delay_alu instid0(VALU_DEP_3) | instskip(SKIP_1) | instid1(SALU_CYCLE_1)
	v_add3_u32 v2, 16, v2, 40
	s_or_b32 s0, s15, vcc_lo
	v_cndmask_b32_e64 v3, v255, -1, s0
	s_clause 0x2
	scratch_store_b32 v0, v75, off
	scratch_store_b32 v1, v76, off
	;; [unrolled: 1-line block ×3, first 2 shown]
; %bb.20:
	s_or_b32 exec_lo, exec_lo, s1
	s_clause 0x8
	scratch_load_b32 v98, off, off offset:96
	scratch_load_b128 v[44:47], off, off offset:1392
	scratch_load_b128 v[48:51], off, off offset:1408
	;; [unrolled: 1-line block ×8, first 2 shown]
	v_mov_b32_e32 v95, -1
	v_dual_mov_b32 v96, -1 :: v_dual_mov_b32 v145, 0
	v_dual_mov_b32 v132, -1 :: v_dual_mov_b32 v133, -1
	v_mov_b32_e32 v146, 0
	s_delay_alu instid0(VALU_DEP_3)
	v_dual_mov_b32 v8, v95 :: v_dual_mov_b32 v9, v96
	s_waitcnt vmcnt(8)
	v_cmp_eq_u32_e32 vcc_lo, 1, v98
	v_mov_b32_e32 v2, v100
	v_cmp_eq_u32_e64 s0, 2, v98
	v_mov_b32_e32 v3, v101
	v_dual_cndmask_b32 v1, v109, v104 :: v_dual_cndmask_b32 v0, v110, v105
	v_cmp_eq_u32_e32 vcc_lo, 3, v98
	s_delay_alu instid0(VALU_DEP_2) | instskip(NEXT) | instid1(VALU_DEP_3)
	v_cndmask_b32_e64 v1, v1, v2, s0
	v_cndmask_b32_e64 v0, v0, v3, s0
	v_cmp_lt_i32_e64 s0, -1, v98
	s_delay_alu instid0(VALU_DEP_2) | instskip(SKIP_1) | instid1(VALU_DEP_2)
	v_dual_cndmask_b32 v1, v1, v16 :: v_dual_cndmask_b32 v0, v0, v17
	v_cmp_eq_u32_e32 vcc_lo, 4, v98
	v_dual_cndmask_b32 v0, v0, v43 :: v_dual_cndmask_b32 v1, v1, v42
	v_cmp_eq_u32_e32 vcc_lo, 5, v98
	s_waitcnt vmcnt(5)
	s_delay_alu instid0(VALU_DEP_2)
	v_cndmask_b32_e32 v0, v0, v55, vcc_lo
	s_clause 0x7
	scratch_load_b128 v[44:47], off, off offset:1520
	scratch_load_b128 v[48:51], off, off offset:1536
	scratch_load_b128 v[52:55], off, off offset:1552
	scratch_load_b128 v[56:59], off, off offset:1568
	scratch_load_b128 v[60:63], off, off offset:1584
	scratch_load_b128 v[64:67], off, off offset:1600
	scratch_load_b128 v[68:71], off, off offset:1616
	scratch_load_b128 v[72:75], off, off offset:1632
	s_waitcnt vmcnt(5)
	v_cndmask_b32_e32 v1, v1, v54, vcc_lo
	s_clause 0x7
	scratch_load_b128 v[44:47], off, off offset:1264
	scratch_load_b128 v[48:51], off, off offset:1280
	scratch_load_b128 v[52:55], off, off offset:1296
	scratch_load_b128 v[56:59], off, off offset:1312
	scratch_load_b128 v[60:63], off, off offset:1328
	scratch_load_b128 v[64:67], off, off offset:1344
	scratch_load_b128 v[68:71], off, off offset:1360
	scratch_load_b128 v[72:75], off, off offset:1376
	v_cmp_eq_u32_e32 vcc_lo, 6, v98
	s_waitcnt vmcnt(4)
	v_cndmask_b32_e32 v0, v0, v57, vcc_lo
	s_clause 0x7
	scratch_load_b128 v[44:47], off, off offset:1648
	scratch_load_b128 v[48:51], off, off offset:1664
	scratch_load_b128 v[52:55], off, off offset:1680
	scratch_load_b128 v[56:59], off, off offset:1696
	scratch_load_b128 v[60:63], off, off offset:1712
	scratch_load_b128 v[64:67], off, off offset:1728
	scratch_load_b128 v[68:71], off, off offset:1744
	scratch_load_b128 v[72:75], off, off offset:1760
	s_waitcnt vmcnt(4)
	v_cndmask_b32_e32 v1, v1, v56, vcc_lo
	s_clause 0x7
	scratch_load_b128 v[44:47], off, off offset:1136
	scratch_load_b128 v[48:51], off, off offset:1152
	scratch_load_b128 v[52:55], off, off offset:1168
	scratch_load_b128 v[56:59], off, off offset:1184
	scratch_load_b128 v[60:63], off, off offset:1200
	scratch_load_b128 v[64:67], off, off offset:1216
	scratch_load_b128 v[68:71], off, off offset:1232
	scratch_load_b128 v[72:75], off, off offset:1248
	v_cmp_eq_u32_e32 vcc_lo, 7, v98
	s_waitcnt vmcnt(4)
	;; [unrolled: 23-line block ×3, first 2 shown]
	v_cndmask_b32_e32 v148, v0, v61, vcc_lo
	s_clause 0x7
	scratch_load_b128 v[44:47], off, off offset:1904
	scratch_load_b128 v[48:51], off, off offset:1920
	;; [unrolled: 1-line block ×8, first 2 shown]
	s_waitcnt vmcnt(3)
	v_cndmask_b32_e32 v147, v1, v60, vcc_lo
	s_and_saveexec_b32 s5, s0
	s_cbranch_execz .LBB4_24
; %bb.21:
	s_clause 0x7
	scratch_load_b128 v[44:47], off, off offset:1008
	scratch_load_b128 v[48:51], off, off offset:1024
	;; [unrolled: 1-line block ×8, first 2 shown]
	v_dual_mov_b32 v9, v147 :: v_dual_mov_b32 v132, -1
	v_mov_b32_e32 v5, v98
	v_dual_mov_b32 v95, -1 :: v_dual_mov_b32 v8, -1
	v_dual_mov_b32 v133, -1 :: v_dual_mov_b32 v10, v148
	s_mov_b32 s6, 0
	s_waitcnt vmcnt(3)
	v_mov_b32_e32 v20, v61
	s_clause 0x7
	scratch_load_b128 v[44:47], off, off offset:1136
	scratch_load_b128 v[48:51], off, off offset:1152
	scratch_load_b128 v[52:55], off, off offset:1168
	scratch_load_b128 v[56:59], off, off offset:1184
	scratch_load_b128 v[60:63], off, off offset:1200
	scratch_load_b128 v[64:67], off, off offset:1216
	scratch_load_b128 v[68:71], off, off offset:1232
	scratch_load_b128 v[72:75], off, off offset:1248
	s_waitcnt vmcnt(4)
	v_mov_b32_e32 v21, v59
	s_clause 0x7
	scratch_load_b128 v[44:47], off, off offset:1264
	scratch_load_b128 v[48:51], off, off offset:1280
	scratch_load_b128 v[52:55], off, off offset:1296
	scratch_load_b128 v[56:59], off, off offset:1312
	scratch_load_b128 v[60:63], off, off offset:1328
	scratch_load_b128 v[64:67], off, off offset:1344
	scratch_load_b128 v[68:71], off, off offset:1360
	scratch_load_b128 v[72:75], off, off offset:1376
	;; [unrolled: 11-line block ×7, first 2 shown]
	s_waitcnt vmcnt(3)
	v_mov_b32_e32 v24, v60
.LBB4_22:                               ; =>This Inner Loop Header: Depth=1
	s_delay_alu instid0(VALU_DEP_1)
	v_lshl_add_u32 v0, v5, 2, v99
	v_dual_mov_b32 v14, v100 :: v_dual_mov_b32 v15, v101
	v_mov_b32_e32 v146, v10
	scratch_load_b32 v18, v0, off
	s_waitcnt vmcnt(0)
	v_cmp_gt_i32_e32 vcc_lo, 0, v18
	v_cndmask_b32_e32 v19, v18, v98, vcc_lo
	s_delay_alu instid0(VALU_DEP_1) | instskip(SKIP_1) | instid1(VALU_DEP_2)
	v_cmp_eq_u32_e64 s1, 1, v19
	v_cmp_eq_u32_e64 s2, 2, v19
	v_cndmask_b32_e64 v0, v110, v105, s1
	v_cndmask_b32_e64 v1, v109, v104, s1
	v_cmp_eq_u32_e64 s1, 3, v19
	s_delay_alu instid0(VALU_DEP_3) | instskip(NEXT) | instid1(VALU_DEP_3)
	v_cndmask_b32_e64 v0, v0, v15, s2
	v_cndmask_b32_e64 v1, v1, v14, s2
	s_delay_alu instid0(VALU_DEP_2) | instskip(NEXT) | instid1(VALU_DEP_2)
	v_cndmask_b32_e64 v0, v0, v17, s1
	v_cndmask_b32_e64 v1, v1, v16, s1
	v_cmp_eq_u32_e64 s1, 4, v19
	s_delay_alu instid0(VALU_DEP_1) | instskip(NEXT) | instid1(VALU_DEP_3)
	v_cndmask_b32_e64 v0, v0, v43, s1
	v_cndmask_b32_e64 v1, v1, v42, s1
	v_cmp_eq_u32_e64 s1, 5, v19
	s_delay_alu instid0(VALU_DEP_1) | instskip(NEXT) | instid1(VALU_DEP_3)
	;; [unrolled: 4-line block ×4, first 2 shown]
	v_cndmask_b32_e64 v0, v0, v21, s1
	v_cndmask_b32_e64 v1, v1, v23, s1
	v_cmp_eq_u32_e64 s1, 8, v19
	s_delay_alu instid0(VALU_DEP_1) | instskip(NEXT) | instid1(VALU_DEP_4)
	v_cndmask_b32_e64 v14, v1, v24, s1
	v_cndmask_b32_e64 v15, v0, v20, s1
	v_mov_b32_e32 v145, v9
	s_delay_alu instid0(VALU_DEP_2) | instskip(NEXT) | instid1(VALU_DEP_2)
	v_dual_mov_b32 v9, v14 :: v_dual_mov_b32 v10, v15
	v_cmp_le_f64_e64 s1, 0, v[145:146]
	v_cmp_gt_f64_e64 s2, 0, v[14:15]
	v_cmp_gt_f64_e64 s3, 0, v[145:146]
	v_cmp_le_f64_e64 s4, 0, v[14:15]
	s_delay_alu instid0(VALU_DEP_3) | instskip(NEXT) | instid1(VALU_DEP_1)
	s_and_b32 s1, s1, s2
	s_and_b32 s2, s3, s4
	v_cndmask_b32_e64 v8, v8, v19, s1
	v_cndmask_b32_e64 v133, v133, v19, s2
	;; [unrolled: 1-line block ×4, first 2 shown]
	v_mov_b32_e32 v5, v18
	s_or_b32 s6, vcc_lo, s6
	s_delay_alu instid0(SALU_CYCLE_1)
	s_and_not1_b32 exec_lo, exec_lo, s6
	s_cbranch_execnz .LBB4_22
; %bb.23:
	s_or_b32 exec_lo, exec_lo, s6
.LBB4_24:
	s_delay_alu instid0(SALU_CYCLE_1)
	s_or_b32 exec_lo, exec_lo, s5
	v_dual_mov_b32 v151, v43 :: v_dual_mov_b32 v150, v42
	v_cmp_lt_i32_e64 s1, -1, v132
	v_dual_mov_b32 v134, -1 :: v_dual_mov_b32 v149, -1
	v_mov_b32_e32 v22, -1
	s_mov_b32 s26, exec_lo
	v_mov_b32_e32 v97, v99
	s_and_b32 s2, s26, s1
	s_delay_alu instid0(SALU_CYCLE_1)
	s_mov_b32 exec_lo, s2
	s_cbranch_execz .LBB4_26
; %bb.25:
	s_clause 0x7
	scratch_load_b128 v[14:17], off, off offset:2032
	scratch_load_b128 v[18:21], off, off offset:2048
	;; [unrolled: 1-line block ×8, first 2 shown]
	v_cmp_eq_u32_e64 s2, 1, v8
	v_cmp_eq_u32_e64 s3, 2, v8
	;; [unrolled: 1-line block ×5, first 2 shown]
	v_cndmask_b32_e64 v5, v110, v105, s2
	v_cmp_eq_u32_e64 s8, 6, v8
	v_cmp_eq_u32_e64 s10, 7, v8
	v_cmp_eq_u32_e64 s11, 8, v8
	v_cndmask_b32_e64 v8, v109, v104, s2
	v_cndmask_b32_e64 v5, v5, v101, s3
	v_cmp_eq_u32_e64 s12, 1, v132
	v_cmp_eq_u32_e64 s13, 2, v132
	v_cmp_eq_u32_e64 s14, 3, v132
	v_cndmask_b32_e64 v8, v8, v100, s3
	v_cmp_eq_u32_e64 s15, 4, v132
	v_cmp_eq_u32_e64 s16, 5, v132
	;; [unrolled: 1-line block ×5, first 2 shown]
	s_movk_i32 s27, 0x10f8
	s_waitcnt vmcnt(6)
	v_dual_mov_b32 v16, v20 :: v_dual_mov_b32 v17, v21
	s_clause 0x7
	scratch_load_b128 v[18:21], off, off offset:1392
	scratch_load_b128 v[22:25], off, off offset:1408
	;; [unrolled: 1-line block ×8, first 2 shown]
	v_cndmask_b32_e64 v8, v8, v16, s4
	v_cndmask_b32_e64 v5, v5, v17, s4
	s_delay_alu instid0(VALU_DEP_2) | instskip(NEXT) | instid1(VALU_DEP_2)
	v_cndmask_b32_e64 v8, v8, v150, s5
	v_cndmask_b32_e64 v5, v5, v151, s5
	s_waitcnt vmcnt(5)
	v_mov_b32_e32 v11, v29
	s_clause 0xf
	scratch_load_b128 v[18:21], off, off offset:1264
	scratch_load_b128 v[22:25], off, off offset:1280
	;; [unrolled: 1-line block ×16, first 2 shown]
	s_waitcnt vmcnt(12)
	v_mov_b32_e32 v13, v31
	s_clause 0x7
	scratch_load_b128 v[18:21], off, off offset:1520
	scratch_load_b128 v[22:25], off, off offset:1536
	;; [unrolled: 1-line block ×8, first 2 shown]
	s_waitcnt vmcnt(5)
	v_mov_b32_e32 v10, v28
	s_clause 0x7
	scratch_load_b128 v[18:21], off, off offset:1648
	scratch_load_b128 v[22:25], off, off offset:1664
	;; [unrolled: 1-line block ×8, first 2 shown]
	v_cndmask_b32_e64 v5, v5, v11, s6
	v_cndmask_b32_e64 v8, v8, v10, s6
	s_waitcnt vmcnt(4)
	v_mov_b32_e32 v12, v30
	s_clause 0x7
	scratch_load_b128 v[18:21], off, off offset:1776
	scratch_load_b128 v[22:25], off, off offset:1792
	scratch_load_b128 v[26:29], off, off offset:1808
	scratch_load_b128 v[30:33], off, off offset:1824
	scratch_load_b128 v[34:37], off, off offset:1840
	scratch_load_b128 v[38:41], off, off offset:1856
	scratch_load_b128 v[42:45], off, off offset:1872
	scratch_load_b128 v[46:49], off, off offset:1888
	v_cndmask_b32_e64 v5, v5, v13, s8
	v_cndmask_b32_e64 v8, v8, v12, s8
	s_delay_alu instid0(VALU_DEP_2)
	v_cndmask_b32_e64 v5, v5, v50, s10
	s_waitcnt vmcnt(4)
	v_mov_b32_e32 v51, v32
	s_clause 0x10
	scratch_load_b128 v[18:21], off, off offset:1008
	scratch_load_b128 v[22:25], off, off offset:1024
	;; [unrolled: 1-line block ×16, first 2 shown]
	scratch_load_b32 v149, off, off offset:100
	scratch_load_b64 v[89:90], off, s27     ; 8-byte Folded Reload
	s_movk_i32 s27, 0x1100
	scratch_load_b64 v[91:92], off, s27     ; 8-byte Folded Reload
	s_movk_i32 s27, 0x10f0
	scratch_load_b64 v[87:88], off, s27     ; 8-byte Folded Reload
	s_waitcnt vmcnt(15)
	v_mov_b32_e32 v32, v35
	v_cndmask_b32_e64 v8, v8, v51, s10
	s_waitcnt vmcnt(7)
	v_mov_b32_e32 v33, v68
	s_waitcnt vmcnt(3)
	v_cmp_eq_u32_e64 s20, 7, v149
	v_cmp_eq_u32_e64 s21, 6, v149
	v_cndmask_b32_e64 v15, v5, v32, s11
	v_cndmask_b32_e64 v5, v110, v105, s12
	;; [unrolled: 1-line block ×4, first 2 shown]
	v_cmp_eq_u32_e64 s22, 5, v149
	v_cmp_eq_u32_e64 s7, 3, v149
	v_cndmask_b32_e64 v5, v5, v101, s13
	v_add_f64 v[20:21], -v[14:15], 0
	v_cndmask_b32_e64 v8, v8, v100, s13
	v_cmp_eq_u32_e64 s9, 4, v149
	s_delay_alu instid0(VALU_DEP_4) | instskip(NEXT) | instid1(VALU_DEP_3)
	v_cndmask_b32_e64 v5, v5, v17, s14
	v_cndmask_b32_e64 v8, v8, v16, s14
	s_delay_alu instid0(VALU_DEP_2) | instskip(NEXT) | instid1(VALU_DEP_2)
	v_cndmask_b32_e64 v5, v5, v151, s15
	v_cndmask_b32_e64 v8, v8, v150, s15
	s_delay_alu instid0(VALU_DEP_2) | instskip(NEXT) | instid1(VALU_DEP_2)
	;; [unrolled: 3-line block ×5, first 2 shown]
	v_cndmask_b32_e64 v19, v5, v32, s19
	v_cndmask_b32_e64 v18, v8, v33, s19
	s_delay_alu instid0(VALU_DEP_1) | instskip(NEXT) | instid1(VALU_DEP_1)
	v_add_f64 v[22:23], v[18:19], -v[14:15]
	v_div_scale_f64 v[24:25], null, v[22:23], v[22:23], v[20:21]
	s_delay_alu instid0(VALU_DEP_1) | instskip(SKIP_2) | instid1(VALU_DEP_1)
	v_rcp_f64_e32 v[26:27], v[24:25]
	s_waitcnt_depctr 0xfff
	v_fma_f64 v[28:29], -v[24:25], v[26:27], 1.0
	v_fma_f64 v[26:27], v[26:27], v[28:29], v[26:27]
	s_delay_alu instid0(VALU_DEP_1) | instskip(NEXT) | instid1(VALU_DEP_1)
	v_fma_f64 v[28:29], -v[24:25], v[26:27], 1.0
	v_fma_f64 v[26:27], v[26:27], v[28:29], v[26:27]
	v_div_scale_f64 v[28:29], vcc_lo, v[20:21], v[22:23], v[20:21]
	s_delay_alu instid0(VALU_DEP_1) | instskip(NEXT) | instid1(VALU_DEP_1)
	v_mul_f64 v[30:31], v[28:29], v[26:27]
	v_fma_f64 v[24:25], -v[24:25], v[30:31], v[28:29]
	s_delay_alu instid0(VALU_DEP_1) | instskip(SKIP_4) | instid1(VALU_DEP_1)
	v_div_fmas_f64 v[24:25], v[24:25], v[26:27], v[30:31]
	v_cmp_eq_u32_e32 vcc_lo, 8, v149
	s_waitcnt vmcnt(1)
	v_cndmask_b32_e64 v27, v91, v89, s2
	s_waitcnt vmcnt(0)
	v_cndmask_b32_e64 v27, v27, v87, s3
	s_delay_alu instid0(VALU_DEP_4) | instskip(SKIP_1) | instid1(VALU_DEP_1)
	v_div_fixup_f64 v[102:103], v[24:25], v[22:23], v[20:21]
	v_cndmask_b32_e64 v22, v92, v90, s2
	v_cndmask_b32_e64 v22, v22, v88, s3
	s_delay_alu instid0(VALU_DEP_3) | instskip(NEXT) | instid1(VALU_DEP_1)
	v_add_f64 v[77:78], -v[102:103], 1.0
	v_mul_f64 v[14:15], v[14:15], v[77:78]
	s_delay_alu instid0(VALU_DEP_1) | instskip(NEXT) | instid1(VALU_DEP_1)
	v_fma_f64 v[82:83], v[18:19], v[102:103], v[14:15]
	v_dual_cndmask_b32 v137, v33, v82 :: v_dual_cndmask_b32 v144, v32, v83
	v_cndmask_b32_e64 v138, v51, v82, s20
	v_cndmask_b32_e64 v143, v50, v83, s20
	s_clause 0x7
	scratch_load_b128 v[32:35], off, off offset:112
	scratch_load_b128 v[36:39], off, off offset:128
	;; [unrolled: 1-line block ×8, first 2 shown]
	v_cndmask_b32_e64 v139, v12, v82, s21
	v_cndmask_b32_e64 v140, v10, v82, s22
	;; [unrolled: 1-line block ×8, first 2 shown]
	s_waitcnt vmcnt(6)
	v_dual_mov_b32 v85, v39 :: v_dual_mov_b32 v84, v38
	s_waitcnt vmcnt(0)
	s_delay_alu instid0(VALU_DEP_1)
	v_cndmask_b32_e64 v61, v27, v84, s4
	s_clause 0x7
	scratch_load_b128 v[27:30], off, off offset:240
	scratch_load_b128 v[31:34], off, off offset:256
	scratch_load_b128 v[35:38], off, off offset:272
	scratch_load_b128 v[39:42], off, off offset:288
	scratch_load_b128 v[43:46], off, off offset:304
	scratch_load_b128 v[47:50], off, off offset:320
	scratch_load_b128 v[51:54], off, off offset:336
	scratch_load_b128 v[55:58], off, off offset:352
	s_waitcnt vmcnt(5)
	v_dual_mov_b32 v80, v36 :: v_dual_mov_b32 v79, v35
	s_clause 0x7
	scratch_load_b128 v[28:31], off, off offset:2416
	scratch_load_b128 v[32:35], off, off offset:2432
	;; [unrolled: 1-line block ×8, first 2 shown]
	v_cndmask_b32_e64 v22, v22, v85, s4
	s_delay_alu instid0(VALU_DEP_1)
	v_cndmask_b32_e64 v22, v22, v80, s5
	s_waitcnt vmcnt(5)
	v_mov_b32_e32 v81, v39
	s_clause 0x7
	scratch_load_b128 v[28:31], off, off offset:2800
	scratch_load_b128 v[32:35], off, off offset:2816
	;; [unrolled: 1-line block ×8, first 2 shown]
	s_waitcnt vmcnt(5)
	v_mov_b32_e32 v96, v38
	v_cndmask_b32_e64 v27, v61, v79, s5
	s_clause 0x7
	scratch_load_b128 v[40:43], off, off offset:2288
	scratch_load_b128 v[44:47], off, off offset:2304
	;; [unrolled: 1-line block ×8, first 2 shown]
	v_cndmask_b32_e64 v27, v27, v96, s6
	s_waitcnt vmcnt(4)
	v_mov_b32_e32 v86, v53
	s_clause 0x7
	scratch_load_b128 v[45:48], off, off offset:2672
	scratch_load_b128 v[49:52], off, off offset:2688
	;; [unrolled: 1-line block ×8, first 2 shown]
	v_cndmask_b32_e64 v22, v22, v81, s6
	s_delay_alu instid0(VALU_DEP_1)
	v_cndmask_b32_e64 v0, v22, v86, s8
	s_waitcnt vmcnt(4)
	v_cndmask_b32_e64 v1, v27, v57, s8
	s_clause 0x7
	scratch_load_b128 v[19:22], off, off offset:2160
	scratch_load_b128 v[23:26], off, off offset:2176
	;; [unrolled: 1-line block ×8, first 2 shown]
	s_waitcnt vmcnt(4)
	v_mov_b32_e32 v55, v34
	s_clause 0x7
	scratch_load_b128 v[22:25], off, off offset:2544
	scratch_load_b128 v[26:29], off, off offset:2560
	;; [unrolled: 1-line block ×8, first 2 shown]
	s_waitcnt vmcnt(3)
	v_cndmask_b32_e64 v39, v251, v253, s2
	v_cndmask_b32_e64 v56, v0, v55, s10
	s_delay_alu instid0(VALU_DEP_2) | instskip(NEXT) | instid1(VALU_DEP_1)
	v_cndmask_b32_e64 v39, v39, v245, s3
	v_cndmask_b32_e64 v39, v39, v175, s4
	s_delay_alu instid0(VALU_DEP_1)
	v_cndmask_b32_e64 v39, v39, v135, s5
	v_cndmask_b32_e64 v33, v1, v36, s10
	s_clause 0x7
	scratch_load_b128 v[0:3], off, off offset:752
	scratch_load_b128 v[4:7], off, off offset:768
	;; [unrolled: 1-line block ×8, first 2 shown]
	s_waitcnt vmcnt(3)
	v_mov_b32_e32 v35, v17
	s_clause 0x7
	scratch_load_b128 v[0:3], off, off offset:880
	scratch_load_b128 v[4:7], off, off offset:896
	;; [unrolled: 1-line block ×8, first 2 shown]
	s_waitcnt vmcnt(2)
	v_cndmask_b32_e64 v22, v92, v90, s12
	s_waitcnt vmcnt(0)
	v_cndmask_b32_e64 v29, v91, v89, s12
	v_cndmask_b32_e64 v32, v56, v35, s11
	s_delay_alu instid0(VALU_DEP_3) | instskip(NEXT) | instid1(VALU_DEP_3)
	v_cndmask_b32_e64 v22, v22, v88, s13
	v_cndmask_b32_e64 v29, v29, v87, s13
	s_delay_alu instid0(VALU_DEP_2) | instskip(NEXT) | instid1(VALU_DEP_2)
	v_cndmask_b32_e64 v22, v22, v85, s14
	v_cndmask_b32_e64 v29, v29, v84, s14
	s_delay_alu instid0(VALU_DEP_2) | instskip(NEXT) | instid1(VALU_DEP_2)
	v_cndmask_b32_e64 v22, v22, v80, s15
	v_cndmask_b32_e64 v29, v29, v79, s15
	s_delay_alu instid0(VALU_DEP_2) | instskip(NEXT) | instid1(VALU_DEP_2)
	v_cndmask_b32_e64 v22, v22, v81, s16
	v_cndmask_b32_e64 v29, v29, v96, s16
	s_delay_alu instid0(VALU_DEP_2) | instskip(NEXT) | instid1(VALU_DEP_2)
	v_cndmask_b32_e64 v22, v22, v86, s17
	v_cndmask_b32_e64 v29, v29, v57, s17
	s_delay_alu instid0(VALU_DEP_2) | instskip(NEXT) | instid1(VALU_DEP_2)
	v_cndmask_b32_e64 v22, v22, v55, s18
	v_cndmask_b32_e64 v29, v29, v36, s18
	s_delay_alu instid0(VALU_DEP_2) | instskip(SKIP_1) | instid1(VALU_DEP_1)
	v_cndmask_b32_e64 v30, v22, v35, s19
	v_cndmask_b32_e64 v22, v252, v254, s2
	;; [unrolled: 1-line block ×3, first 2 shown]
	s_delay_alu instid0(VALU_DEP_1) | instskip(NEXT) | instid1(VALU_DEP_1)
	v_cndmask_b32_e64 v22, v22, v176, s4
	v_cndmask_b32_e64 v22, v22, v136, s5
	;; [unrolled: 1-line block ×4, first 2 shown]
	s_delay_alu instid0(VALU_DEP_2) | instskip(NEXT) | instid1(VALU_DEP_1)
	v_mul_f64 v[27:28], v[31:32], v[77:78]
	v_fma_f64 v[93:94], v[29:30], v[102:103], v[27:28]
	s_delay_alu instid0(VALU_DEP_1) | instskip(NEXT) | instid1(VALU_DEP_2)
	v_cndmask_b32_e64 v117, v57, v93, s21
	v_cndmask_b32_e64 v124, v55, v94, s20
	s_clause 0x7
	scratch_load_b128 v[40:43], off, off offset:3824
	scratch_load_b128 v[44:47], off, off offset:3840
	;; [unrolled: 1-line block ×8, first 2 shown]
	v_cndmask_b32_e64 v128, v79, v93, s9
	v_cndmask_b32_e64 v131, v85, v94, s7
	;; [unrolled: 1-line block ×6, first 2 shown]
	v_cndmask_b32_e32 v121, v16, v93, vcc_lo
	v_cndmask_b32_e64 v123, v86, v94, s21
	v_cndmask_b32_e64 v114, v96, v93, s22
	s_waitcnt vmcnt(5)
	v_mov_b32_e32 v79, v51
	s_clause 0x7
	scratch_load_b128 v[40:43], off, off offset:624
	scratch_load_b128 v[44:47], off, off offset:640
	scratch_load_b128 v[48:51], off, off offset:656
	scratch_load_b128 v[52:55], off, off offset:672
	scratch_load_b128 v[56:59], off, off offset:688
	scratch_load_b128 v[60:63], off, off offset:704
	scratch_load_b128 v[64:67], off, off offset:720
	scratch_load_b128 v[68:71], off, off offset:736
	v_cndmask_b32_e64 v22, v22, v79, s6
	s_waitcnt vmcnt(5)
	v_mov_b32_e32 v85, v50
	s_clause 0x7
	scratch_load_b128 v[40:43], off, off offset:3696
	scratch_load_b128 v[44:47], off, off offset:3712
	scratch_load_b128 v[48:51], off, off offset:3728
	scratch_load_b128 v[52:55], off, off offset:3744
	scratch_load_b128 v[56:59], off, off offset:3760
	scratch_load_b128 v[60:63], off, off offset:3776
	scratch_load_b128 v[64:67], off, off offset:3792
	scratch_load_b128 v[68:71], off, off offset:3808
	v_cndmask_b32_e64 v39, v39, v85, s6
	s_waitcnt vmcnt(4)
	v_mov_b32_e32 v80, v53
	s_clause 0x7
	scratch_load_b128 v[40:43], off, off offset:496
	scratch_load_b128 v[44:47], off, off offset:512
	scratch_load_b128 v[48:51], off, off offset:528
	scratch_load_b128 v[52:55], off, off offset:544
	scratch_load_b128 v[56:59], off, off offset:560
	scratch_load_b128 v[60:63], off, off offset:576
	scratch_load_b128 v[64:67], off, off offset:592
	scratch_load_b128 v[68:71], off, off offset:608
	v_cndmask_b32_e64 v22, v22, v80, s8
	s_waitcnt vmcnt(4)
	v_mov_b32_e32 v84, v52
	s_clause 0x7
	scratch_load_b128 v[41:44], off, off offset:3568
	scratch_load_b128 v[45:48], off, off offset:3584
	scratch_load_b128 v[49:52], off, off offset:3600
	scratch_load_b128 v[53:56], off, off offset:3616
	scratch_load_b128 v[57:60], off, off offset:3632
	scratch_load_b128 v[61:64], off, off offset:3648
	scratch_load_b128 v[65:68], off, off offset:3664
	scratch_load_b128 v[69:72], off, off offset:3680
	v_cndmask_b32_e32 v127, v35, v94, vcc_lo
	v_cndmask_b32_e64 v39, v39, v84, s8
	s_waitcnt vmcnt(4)
	v_mov_b32_e32 v81, v56
	s_clause 0x7
	scratch_load_b128 v[43:46], off, off offset:368
	scratch_load_b128 v[47:50], off, off offset:384
	;; [unrolled: 1-line block ×8, first 2 shown]
	v_cndmask_b32_e64 v22, v22, v81, s10
	s_waitcnt vmcnt(4)
	v_cndmask_b32_e64 v55, v39, v57, s10
	s_clause 0x7
	scratch_load_b128 v[23:26], off, off offset:3440
	scratch_load_b128 v[27:30], off, off offset:3456
	;; [unrolled: 1-line block ×8, first 2 shown]
	s_waitcnt vmcnt(3)
	v_cndmask_b32_e64 v39, v251, v253, s12
	s_waitcnt vmcnt(1)
	v_cndmask_b32_e64 v49, v248, v166, s2
	s_delay_alu instid0(VALU_DEP_2) | instskip(NEXT) | instid1(VALU_DEP_2)
	v_cndmask_b32_e64 v39, v39, v245, s13
	v_cndmask_b32_e64 v49, v49, v164, s3
	s_delay_alu instid0(VALU_DEP_2) | instskip(NEXT) | instid1(VALU_DEP_2)
	v_cndmask_b32_e64 v39, v39, v175, s14
	;; [unrolled: 3-line block ×4, first 2 shown]
	v_cndmask_b32_e64 v49, v49, v223, s6
	s_delay_alu instid0(VALU_DEP_2) | instskip(NEXT) | instid1(VALU_DEP_1)
	v_cndmask_b32_e64 v39, v39, v84, s17
	v_cndmask_b32_e64 v39, v39, v57, s18
	v_cndmask_b32_e64 v43, v22, v40, s11
	s_clause 0x7
	scratch_load_b128 v[7:10], off, off offset:3952
	scratch_load_b128 v[11:14], off, off offset:3968
	;; [unrolled: 1-line block ×8, first 2 shown]
	s_waitcnt vmcnt(4)
	v_cndmask_b32_e64 v22, v252, v254, s12
	s_delay_alu instid0(VALU_DEP_1) | instskip(NEXT) | instid1(VALU_DEP_1)
	v_cndmask_b32_e64 v22, v22, v246, s13
	v_cndmask_b32_e64 v22, v22, v176, s14
	s_delay_alu instid0(VALU_DEP_1) | instskip(NEXT) | instid1(VALU_DEP_1)
	v_cndmask_b32_e64 v22, v22, v136, s15
	;; [unrolled: 3-line block ×3, first 2 shown]
	v_cndmask_b32_e64 v22, v22, v81, s18
	s_delay_alu instid0(VALU_DEP_1) | instskip(SKIP_2) | instid1(VALU_DEP_1)
	v_cndmask_b32_e64 v45, v22, v40, s19
	v_cndmask_b32_e64 v22, v249, v167, s2
	s_movk_i32 s2, 0xff0
	v_cndmask_b32_e64 v22, v22, v165, s3
	v_cmp_eq_u32_e64 s3, 8, v133
	s_delay_alu instid0(VALU_DEP_2) | instskip(SKIP_1) | instid1(VALU_DEP_2)
	v_cndmask_b32_e64 v22, v22, v116, s4
	v_cmp_eq_u32_e64 s4, 4, v133
	v_cndmask_b32_e64 v22, v22, v126, s5
	v_cmp_eq_u32_e64 s5, 7, v133
	s_waitcnt vmcnt(3)
	v_cndmask_b32_e64 v42, v55, v23, s11
	v_cndmask_b32_e64 v44, v39, v23, s19
	s_delay_alu instid0(VALU_DEP_2) | instskip(NEXT) | instid1(VALU_DEP_1)
	v_mul_f64 v[42:43], v[42:43], v[77:78]
	v_fma_f64 v[67:68], v[44:45], v[102:103], v[42:43]
	s_delay_alu instid0(VALU_DEP_1) | instskip(NEXT) | instid1(VALU_DEP_2)
	v_cndmask_b32_e64 v6, v175, v67, s7
	v_cndmask_b32_e64 v7, v176, v68, s7
	s_clause 0x7
	scratch_load_b128 v[168:171], off, off offset:3056
	scratch_load_b128 v[172:175], off, off offset:3072
	;; [unrolled: 1-line block ×8, first 2 shown]
	v_cndmask_b32_e64 v43, v57, v67, s20
	v_cndmask_b32_e64 v42, v84, v67, s21
	;; [unrolled: 1-line block ×3, first 2 shown]
	v_cndmask_b32_e32 v44, v23, v67, vcc_lo
	v_cndmask_b32_e32 v48, v40, v68, vcc_lo
	v_cndmask_b32_e64 v16, v135, v67, s9
	v_cndmask_b32_e64 v17, v136, v68, s9
	s_waitcnt vmcnt(5)
	v_mov_b32_e32 v11, v179
	s_clause 0x7
	scratch_load_b128 v[168:171], off, off offset:2928
	scratch_load_b128 v[172:175], off, off offset:2944
	scratch_load_b128 v[176:179], off, off offset:2960
	scratch_load_b128 v[180:183], off, off offset:2976
	scratch_load_b128 v[184:187], off, off offset:2992
	scratch_load_b128 v[188:191], off, off offset:3008
	scratch_load_b128 v[192:195], off, off offset:3024
	scratch_load_b128 v[196:199], off, off offset:3040
	v_cndmask_b32_e64 v22, v22, v11, s6
	v_cmp_eq_u32_e64 s6, 5, v133
	s_waitcnt vmcnt(4)
	v_mov_b32_e32 v13, v181
	s_clause 0x7
	scratch_load_b128 v[168:171], off, off offset:3312
	scratch_load_b128 v[172:175], off, off offset:3328
	;; [unrolled: 1-line block ×8, first 2 shown]
	v_cndmask_b32_e64 v22, v22, v13, s8
	s_waitcnt vmcnt(4)
	v_mov_b32_e32 v12, v180
	s_clause 0x7
	scratch_load_b128 v[168:171], off, s2
	scratch_load_b128 v[172:175], off, s2 offset:16
	scratch_load_b128 v[176:179], off, s2 offset:32
	;; [unrolled: 1-line block ×7, first 2 shown]
	s_movk_i32 s2, 0x1070
	v_cndmask_b32_e64 v45, v79, v68, s22
	v_cndmask_b32_e64 v49, v49, v12, s8
	v_cmp_eq_u32_e64 s8, 3, v133
	s_waitcnt vmcnt(4)
	v_mov_b32_e32 v15, v183
	s_clause 0x7
	scratch_load_b128 v[168:171], off, off offset:3184
	scratch_load_b128 v[172:175], off, off offset:3200
	;; [unrolled: 1-line block ×8, first 2 shown]
	v_cndmask_b32_e64 v22, v22, v15, s10
	s_waitcnt vmcnt(4)
	v_mov_b32_e32 v14, v182
	s_clause 0x7
	scratch_load_b128 v[168:171], off, s2
	scratch_load_b128 v[172:175], off, s2 offset:16
	scratch_load_b128 v[176:179], off, s2 offset:32
	;; [unrolled: 1-line block ×7, first 2 shown]
	v_cndmask_b32_e64 v47, v81, v68, s20
	v_cmp_eq_u32_e64 s2, 6, v133
	v_cndmask_b32_e64 v49, v49, v14, s10
	v_cmp_eq_u32_e64 s10, 1, v95
	s_delay_alu instid0(VALU_DEP_2) | instskip(SKIP_1) | instid1(VALU_DEP_1)
	v_cndmask_b32_e64 v56, v49, v201, s11
	v_cndmask_b32_e64 v49, v248, v166, s12
	;; [unrolled: 1-line block ×3, first 2 shown]
	s_delay_alu instid0(VALU_DEP_1) | instskip(NEXT) | instid1(VALU_DEP_1)
	v_cndmask_b32_e64 v49, v49, v115, s14
	v_cndmask_b32_e64 v49, v49, v125, s15
	s_delay_alu instid0(VALU_DEP_1) | instskip(NEXT) | instid1(VALU_DEP_1)
	v_cndmask_b32_e64 v49, v49, v223, s16
	v_cndmask_b32_e64 v49, v49, v12, s17
	s_delay_alu instid0(VALU_DEP_1) | instskip(SKIP_3) | instid1(VALU_DEP_2)
	v_cndmask_b32_e64 v49, v49, v14, s18
	s_waitcnt vmcnt(3)
	v_mov_b32_e32 v18, v185
	v_cndmask_b32_e64 v39, v85, v67, s22
	v_cndmask_b32_e64 v57, v22, v18, s11
	;; [unrolled: 1-line block ×3, first 2 shown]
	v_cmp_eq_u32_e64 s12, 7, v95
	v_cmp_eq_u32_e64 s11, 8, v95
	s_delay_alu instid0(VALU_DEP_4) | instskip(NEXT) | instid1(VALU_DEP_4)
	v_mul_f64 v[54:55], v[56:57], v[77:78]
	v_cndmask_b32_e64 v22, v22, v165, s13
	v_cndmask_b32_e64 v56, v49, v201, s19
	v_cmp_eq_u32_e64 s13, 5, v95
	s_delay_alu instid0(VALU_DEP_3) | instskip(SKIP_1) | instid1(VALU_DEP_2)
	v_cndmask_b32_e64 v22, v22, v116, s14
	v_cmp_eq_u32_e64 s14, 6, v95
	v_cndmask_b32_e64 v22, v22, v126, s15
	v_cmp_eq_u32_e64 s15, 4, v95
	s_delay_alu instid0(VALU_DEP_2) | instskip(SKIP_1) | instid1(VALU_DEP_2)
	v_cndmask_b32_e64 v22, v22, v11, s16
	v_cmp_eq_u32_e64 s16, 2, v95
	v_cndmask_b32_e64 v22, v22, v13, s17
	v_cmp_eq_u32_e64 s17, 3, v95
	s_delay_alu instid0(VALU_DEP_2) | instskip(SKIP_1) | instid1(VALU_DEP_2)
	v_cndmask_b32_e64 v22, v22, v15, s18
	v_cmp_eq_u32_e64 s18, 2, v133
	v_cndmask_b32_e64 v57, v22, v18, s19
	v_lshlrev_b32_e32 v22, 2, v149
	v_cmp_eq_u32_e64 s19, 1, v133
	s_delay_alu instid0(VALU_DEP_2) | instskip(NEXT) | instid1(VALU_DEP_4)
	v_add3_u32 v22, 16, v22, 40
	v_fma_f64 v[69:70], v[56:57], v[102:103], v[54:55]
	scratch_load_b32 v22, v22, off
	v_cndmask_b32_e64 v53, v14, v69, s20
	v_cndmask_b32_e64 v52, v12, v69, s21
	v_cndmask_b32_e32 v58, v18, v70, vcc_lo
	v_cndmask_b32_e64 v57, v15, v70, s20
	v_cndmask_b32_e64 v56, v13, v70, s21
	v_cmp_eq_u32_e64 s20, 1, v149
	v_cmp_eq_u32_e64 s21, 0, v149
	v_cndmask_b32_e32 v54, v201, v69, vcc_lo
	v_cndmask_b32_e64 v49, v223, v69, s22
	v_cndmask_b32_e64 v55, v11, v70, s22
	;; [unrolled: 1-line block ×5, first 2 shown]
	v_cmp_eq_u32_e64 s22, 2, v149
	v_cndmask_b32_e64 v62, v110, v83, s21
	v_cndmask_b32_e64 v106, v167, v70, s20
	;; [unrolled: 1-line block ×39, first 2 shown]
	s_delay_alu instid0(VALU_DEP_3) | instskip(SKIP_1) | instid1(VALU_DEP_4)
	v_cndmask_b32_e64 v64, v63, v144, s11
	v_cndmask_b32_e64 v63, v73, v137, s11
	;; [unrolled: 1-line block ×5, first 2 shown]
	s_delay_alu instid0(VALU_DEP_4) | instskip(NEXT) | instid1(VALU_DEP_3)
	v_add_f64 v[73:74], -v[63:64], 0
	v_add_f64 v[75:76], v[71:72], -v[63:64]
	s_delay_alu instid0(VALU_DEP_1) | instskip(SKIP_1) | instid1(VALU_DEP_2)
	v_div_scale_f64 v[77:78], null, v[75:76], v[75:76], v[73:74]
	v_div_scale_f64 v[83:84], vcc_lo, v[73:74], v[75:76], v[73:74]
	v_rcp_f64_e32 v[79:80], v[77:78]
	s_waitcnt_depctr 0xfff
	v_fma_f64 v[81:82], -v[77:78], v[79:80], 1.0
	s_delay_alu instid0(VALU_DEP_1) | instskip(NEXT) | instid1(VALU_DEP_1)
	v_fma_f64 v[79:80], v[79:80], v[81:82], v[79:80]
	v_fma_f64 v[81:82], -v[77:78], v[79:80], 1.0
	s_delay_alu instid0(VALU_DEP_1) | instskip(NEXT) | instid1(VALU_DEP_1)
	v_fma_f64 v[79:80], v[79:80], v[81:82], v[79:80]
	v_mul_f64 v[81:82], v[83:84], v[79:80]
	s_delay_alu instid0(VALU_DEP_1) | instskip(SKIP_2) | instid1(VALU_DEP_3)
	v_fma_f64 v[77:78], -v[77:78], v[81:82], v[83:84]
	v_cndmask_b32_e64 v84, v253, v67, s20
	v_cndmask_b32_e64 v83, v245, v67, s22
	v_div_fmas_f64 v[77:78], v[77:78], v[79:80], v[81:82]
	v_cndmask_b32_e64 v79, v91, v93, s21
	v_cndmask_b32_e64 v81, v90, v94, s20
	;; [unrolled: 1-line block ×11, first 2 shown]
	s_waitcnt vmcnt(0)
	v_cmp_eq_u32_e32 vcc_lo, 3, v22
	v_cndmask_b32_e64 v65, v65, v80, s16
	v_cndmask_b32_e64 v50, v50, v80, s18
	s_delay_alu instid0(VALU_DEP_2) | instskip(NEXT) | instid1(VALU_DEP_2)
	v_cndmask_b32_e64 v65, v65, v131, s17
	v_cndmask_b32_e64 v103, v50, v131, s8
	s_delay_alu instid0(VALU_DEP_2) | instskip(NEXT) | instid1(VALU_DEP_1)
	v_cndmask_b32_e64 v50, v65, v130, s15
	v_cndmask_b32_e64 v50, v50, v122, s13
	s_delay_alu instid0(VALU_DEP_1)
	v_cndmask_b32_e64 v50, v50, v123, s14
	v_div_fixup_f64 v[73:74], v[77:78], v[75:76], v[73:74]
	v_cndmask_b32_e64 v78, v89, v93, s20
	v_cndmask_b32_e64 v77, v87, v93, s22
	;; [unrolled: 1-line block ×37, first 2 shown]
	v_add_f64 v[40:41], -v[73:74], 1.0
	v_cndmask_b32_e64 v66, v66, v42, s14
	v_cndmask_b32_e64 v69, v69, v55, s13
	v_cndmask_b32_e64 v70, v70, v49, s13
	v_cndmask_b32_e64 v68, v87, v84, s19
	v_cndmask_b32_e64 v65, v65, v47, s12
	v_cndmask_b32_e64 v100, v94, v93, s19
	s_delay_alu instid0(VALU_DEP_3) | instskip(NEXT) | instid1(VALU_DEP_2)
	v_cndmask_b32_e64 v68, v68, v83, s18
	v_cndmask_b32_e64 v100, v100, v92, s18
	s_delay_alu instid0(VALU_DEP_1)
	v_cndmask_b32_e64 v100, v100, v91, s8
	v_mul_f64 v[50:51], v[63:64], v[40:41]
	v_cndmask_b32_e64 v64, v101, v127, s11
	v_cndmask_b32_e64 v63, v102, v121, s11
	;; [unrolled: 1-line block ×13, first 2 shown]
	v_mul_f64 v[63:64], v[63:64], v[40:41]
	v_cndmask_b32_e64 v68, v67, v58, s11
	v_cndmask_b32_e64 v67, v69, v54, s11
	v_cndmask_b32_e64 v69, v101, v122, s6
	v_cndmask_b32_e64 v101, v103, v114, s6
	v_mul_f64 v[65:66], v[65:66], v[40:41]
	v_cndmask_b32_e64 v102, v102, v17, s4
	v_mul_f64 v[40:41], v[67:68], v[40:41]
	v_cndmask_b32_e64 v67, v69, v123, s2
	v_cndmask_b32_e64 v68, v101, v117, s2
	v_cndmask_b32_e64 v69, v99, v76, s4
	v_cndmask_b32_e64 v99, v102, v45, s6
	v_cndmask_b32_e64 v70, v70, v16, s4
	v_cndmask_b32_e64 v101, v67, v124, s5
	v_cndmask_b32_e64 v102, v68, v118, s5
	v_cndmask_b32_e64 v69, v69, v55, s6
	s_delay_alu instid0(VALU_DEP_4) | instskip(NEXT) | instid1(VALU_DEP_2)
	v_cndmask_b32_e64 v70, v70, v39, s6
	v_cndmask_b32_e64 v69, v69, v56, s2
	s_delay_alu instid0(VALU_DEP_2)
	v_cndmask_b32_e64 v70, v70, v42, s2
	v_fma_f64 v[67:68], v[71:72], v[73:74], v[50:51]
	v_lshlrev_b32_e32 v4, 2, v22
	v_cndmask_b32_e64 v72, v99, v46, s2
	v_cndmask_b32_e64 v51, v101, v127, s3
	;; [unrolled: 1-line block ×7, first 2 shown]
	v_cmp_eq_u32_e64 s4, 1, v22
	s_delay_alu instid0(VALU_DEP_4)
	v_cndmask_b32_e64 v71, v71, v49, s6
	s_movk_i32 s6, 0x10f0
	v_fma_f64 v[63:64], v[50:51], v[73:74], v[63:64]
	v_cndmask_b32_e64 v51, v72, v48, s3
	v_cndmask_b32_e64 v50, v70, v44, s3
	;; [unrolled: 1-line block ×3, first 2 shown]
	v_cmp_eq_u32_e64 s2, 4, v22
	s_delay_alu instid0(VALU_DEP_3) | instskip(NEXT) | instid1(VALU_DEP_3)
	v_fma_f64 v[65:66], v[50:51], v[73:74], v[65:66]
	v_cndmask_b32_e64 v70, v71, v53, s5
	v_cndmask_b32_e64 v51, v69, v58, s3
	v_cmp_eq_u32_e64 s5, 0, v22
	v_mov_b32_e32 v99, v97
	s_delay_alu instid0(VALU_DEP_4) | instskip(SKIP_1) | instid1(VALU_DEP_2)
	v_cndmask_b32_e64 v50, v70, v54, s3
	v_cmp_eq_u32_e64 s3, 2, v22
	v_fma_f64 v[69:70], v[50:51], v[73:74], v[40:41]
	v_cndmask_b32_e32 v23, v111, v67, vcc_lo
	v_add3_u32 v4, 16, v4, 40
	v_cndmask_b32_e32 v24, v113, v68, vcc_lo
	v_cndmask_b32_e64 v105, v61, v68, s4
	v_cndmask_b32_e64 v104, v60, v67, s4
	;; [unrolled: 1-line block ×3, first 2 shown]
	scratch_load_b32 v4, v4, off
	v_cndmask_b32_e64 v109, v59, v67, s5
	v_cndmask_b32_e64 v151, v112, v68, s2
	;; [unrolled: 1-line block ×3, first 2 shown]
	v_dual_cndmask_b32 v175, v6, v65 :: v_dual_cndmask_b32 v176, v7, v66
	v_cndmask_b32_e64 v135, v16, v65, s2
	v_cndmask_b32_e64 v246, v88, v66, s3
	;; [unrolled: 1-line block ×7, first 2 shown]
	v_cndmask_b32_e32 v116, v95, v70, vcc_lo
	v_cndmask_b32_e32 v115, v91, v69, vcc_lo
	v_cndmask_b32_e64 v126, v76, v70, s2
	v_cndmask_b32_e64 v125, v75, v69, s2
	v_cndmask_b32_e64 v165, v96, v70, s3
	v_cndmask_b32_e64 v164, v92, v69, s3
	v_cndmask_b32_e64 v167, v106, v70, s4
	v_cndmask_b32_e64 v166, v93, v69, s4
	v_cndmask_b32_e64 v249, v107, v70, s5
	v_cndmask_b32_e64 v248, v94, v69, s5
	s_waitcnt vmcnt(0)
	s_clause 0x8
	scratch_store_b32 off, v4, off offset:100
	scratch_store_b128 off, v[17:20], off offset:2032
	scratch_store_b128 off, v[21:24], off offset:2048
	;; [unrolled: 1-line block ×8, first 2 shown]
	v_cndmask_b32_e64 v41, v130, v64, s2
	v_cndmask_b32_e64 v40, v128, v63, s2
	;; [unrolled: 1-line block ×4, first 2 shown]
	s_clause 0x7
	scratch_store_b128 off, v[32:35], off offset:240
	scratch_store_b128 off, v[36:39], off offset:256
	;; [unrolled: 1-line block ×8, first 2 shown]
	v_cndmask_b32_e32 v37, v131, v64, vcc_lo
	v_dual_mov_b32 v101, v24 :: v_dual_mov_b32 v100, v23
	v_cndmask_b32_e64 v24, v82, v64, s5
	v_cndmask_b32_e64 v136, v17, v66, s2
	v_cmp_eq_u32_e64 s2, 7, v22
	v_cndmask_b32_e32 v36, v129, v63, vcc_lo
	s_clause 0x7
	scratch_store_b128 off, v[30:33], off offset:112
	scratch_store_b128 off, v[34:37], off offset:128
	scratch_store_b128 off, v[38:41], off offset:144
	scratch_store_b128 off, v[42:45], off offset:160
	scratch_store_b128 off, v[46:49], off offset:176
	scratch_store_b128 off, v[50:53], off offset:192
	scratch_store_b128 off, v[54:57], off offset:208
	scratch_store_b128 off, v[58:61], off offset:224
	v_cndmask_b32_e64 v36, v80, v64, s3
	v_cndmask_b32_e64 v35, v77, v63, s3
	v_cmp_eq_u32_e32 vcc_lo, 8, v22
	v_cndmask_b32_e64 v23, v79, v63, s5
	v_cmp_eq_u32_e64 s3, 6, v22
	s_movk_i32 s5, 0x1070
	scratch_store_b64 off, v[35:36], s6     ; 8-byte Folded Spill
	v_cndmask_b32_e64 v36, v81, v64, s4
	v_cndmask_b32_e64 v35, v78, v63, s4
	v_cndmask_b32_e32 v17, v144, v68, vcc_lo
	s_movk_i32 s6, 0x10f8
	v_cmp_eq_u32_e64 s4, 5, v22
	scratch_store_b64 off, v[35:36], s6     ; 8-byte Folded Spill
	s_movk_i32 s6, 0x1100
	scratch_store_b64 off, v[23:24], s6     ; 8-byte Folded Spill
	s_clause 0x7
	scratch_store_b128 off, v[0:3], off offset:1008
	scratch_store_b128 off, v[4:7], off offset:1024
	;; [unrolled: 1-line block ×8, first 2 shown]
	v_cndmask_b32_e32 v16, v137, v67, vcc_lo
	v_cndmask_b32_e64 v223, v49, v69, s4
	s_clause 0x7
	scratch_store_b128 off, v[0:3], off offset:1904
	scratch_store_b128 off, v[4:7], off offset:1920
	scratch_store_b128 off, v[8:11], off offset:1936
	scratch_store_b128 off, v[12:15], off offset:1952
	scratch_store_b128 off, v[16:19], off offset:1968
	scratch_store_b128 off, v[20:23], off offset:1984
	scratch_store_b128 off, v[24:27], off offset:2000
	scratch_store_b128 off, v[28:31], off offset:2016
	v_cndmask_b32_e64 v15, v143, v68, s2
	s_clause 0x7
	scratch_store_b128 off, v[0:3], off offset:1136
	scratch_store_b128 off, v[4:7], off offset:1152
	scratch_store_b128 off, v[8:11], off offset:1168
	scratch_store_b128 off, v[12:15], off offset:1184
	scratch_store_b128 off, v[16:19], off offset:1200
	scratch_store_b128 off, v[20:23], off offset:1216
	scratch_store_b128 off, v[24:27], off offset:1232
	scratch_store_b128 off, v[28:31], off offset:1248
	;; [unrolled: 10-line block ×7, first 2 shown]
	v_cndmask_b32_e32 v17, v127, v64, vcc_lo
	s_clause 0x7
	scratch_store_b128 off, v[0:3], off offset:752
	scratch_store_b128 off, v[4:7], off offset:768
	scratch_store_b128 off, v[8:11], off offset:784
	scratch_store_b128 off, v[12:15], off offset:800
	scratch_store_b128 off, v[16:19], off offset:816
	scratch_store_b128 off, v[20:23], off offset:832
	scratch_store_b128 off, v[24:27], off offset:848
	scratch_store_b128 off, v[28:31], off offset:864
	v_cndmask_b32_e32 v16, v121, v63, vcc_lo
	s_clause 0x7
	scratch_store_b128 off, v[0:3], off offset:880
	scratch_store_b128 off, v[4:7], off offset:896
	scratch_store_b128 off, v[8:11], off offset:912
	scratch_store_b128 off, v[12:15], off offset:928
	scratch_store_b128 off, v[16:19], off offset:944
	scratch_store_b128 off, v[20:23], off offset:960
	scratch_store_b128 off, v[24:27], off offset:976
	scratch_store_b128 off, v[28:31], off offset:992
	v_cndmask_b32_e64 v15, v124, v64, s2
	s_clause 0x7
	scratch_store_b128 off, v[0:3], off offset:2160
	scratch_store_b128 off, v[4:7], off offset:2176
	scratch_store_b128 off, v[8:11], off offset:2192
	scratch_store_b128 off, v[12:15], off offset:2208
	scratch_store_b128 off, v[16:19], off offset:2224
	scratch_store_b128 off, v[20:23], off offset:2240
	scratch_store_b128 off, v[24:27], off offset:2256
	scratch_store_b128 off, v[28:31], off offset:2272
	v_cndmask_b32_e64 v14, v118, v63, s2
	;; [unrolled: 10-line block ×6, first 2 shown]
	s_clause 0x7
	scratch_store_b128 off, v[0:3], off offset:2800
	scratch_store_b128 off, v[4:7], off offset:2816
	;; [unrolled: 1-line block ×8, first 2 shown]
	v_dual_cndmask_b32 v18, v48, v66 :: v_dual_cndmask_b32 v201, v54, v69
	s_clause 0x7
	scratch_store_b128 off, v[1:4], off offset:3440
	scratch_store_b128 off, v[5:8], off offset:3456
	;; [unrolled: 1-line block ×8, first 2 shown]
	v_cndmask_b32_e32 v16, v44, v65, vcc_lo
	s_clause 0x7
	scratch_store_b128 off, v[0:3], off offset:3952
	scratch_store_b128 off, v[4:7], off offset:3968
	scratch_store_b128 off, v[8:11], off offset:3984
	scratch_store_b128 off, v[12:15], off offset:4000
	scratch_store_b128 off, v[16:19], off offset:4016
	scratch_store_b128 off, v[20:23], off offset:4032
	scratch_store_b128 off, v[24:27], off offset:4048
	scratch_store_b128 off, v[28:31], off offset:4064
	v_cndmask_b32_e64 v15, v47, v66, s2
	s_clause 0x7
	scratch_store_b128 off, v[0:3], off offset:3568
	scratch_store_b128 off, v[4:7], off offset:3584
	scratch_store_b128 off, v[8:11], off offset:3600
	scratch_store_b128 off, v[12:15], off offset:3616
	scratch_store_b128 off, v[16:19], off offset:3632
	scratch_store_b128 off, v[20:23], off offset:3648
	scratch_store_b128 off, v[24:27], off offset:3664
	scratch_store_b128 off, v[28:31], off offset:3680
	v_cndmask_b32_e64 v14, v43, v65, s2
	;; [unrolled: 10-line block ×6, first 2 shown]
	s_clause 0x7
	scratch_store_b128 off, v[0:3], off offset:624
	scratch_store_b128 off, v[4:7], off offset:640
	scratch_store_b128 off, v[8:11], off offset:656
	scratch_store_b128 off, v[12:15], off offset:672
	scratch_store_b128 off, v[16:19], off offset:688
	scratch_store_b128 off, v[20:23], off offset:704
	scratch_store_b128 off, v[24:27], off offset:720
	scratch_store_b128 off, v[28:31], off offset:736
	v_cndmask_b32_e32 v17, v58, v70, vcc_lo
	s_clause 0x7
	scratch_store_b128 off, v[0:3], s5
	scratch_store_b128 off, v[4:7], s5 offset:16
	scratch_store_b128 off, v[8:11], s5 offset:32
	;; [unrolled: 1-line block ×7, first 2 shown]
	v_cndmask_b32_e64 v15, v57, v70, s2
	s_movk_i32 s5, 0xff0
	s_clause 0x7
	scratch_store_b128 off, v[0:3], s5
	scratch_store_b128 off, v[4:7], s5 offset:16
	scratch_store_b128 off, v[8:11], s5 offset:32
	;; [unrolled: 1-line block ×7, first 2 shown]
	v_cndmask_b32_e64 v14, v53, v69, s2
	s_clause 0x7
	scratch_store_b128 off, v[0:3], off offset:3184
	scratch_store_b128 off, v[4:7], off offset:3200
	scratch_store_b128 off, v[8:11], off offset:3216
	scratch_store_b128 off, v[12:15], off offset:3232
	scratch_store_b128 off, v[16:19], off offset:3248
	scratch_store_b128 off, v[20:23], off offset:3264
	scratch_store_b128 off, v[24:27], off offset:3280
	scratch_store_b128 off, v[28:31], off offset:3296
	v_cndmask_b32_e64 v13, v56, v70, s3
	s_clause 0x7
	scratch_store_b128 off, v[0:3], off offset:2928
	scratch_store_b128 off, v[4:7], off offset:2944
	scratch_store_b128 off, v[8:11], off offset:2960
	scratch_store_b128 off, v[12:15], off offset:2976
	scratch_store_b128 off, v[16:19], off offset:2992
	scratch_store_b128 off, v[20:23], off offset:3008
	scratch_store_b128 off, v[24:27], off offset:3024
	scratch_store_b128 off, v[28:31], off offset:3040
	;; [unrolled: 10-line block ×4, first 2 shown]
.LBB4_26:
	s_or_b32 exec_lo, exec_lo, s26
	s_mov_b32 s2, 0
	scratch_store_b32 off, v134, off offset:96
	s_mov_b32 s3, exec_lo
	s_movk_i32 s4, 0x10f0
	s_and_b32 s0, s3, s0
	scratch_load_b64 v[76:77], off, s4      ; 8-byte Folded Reload
	s_movk_i32 s4, 0x10f8
	scratch_load_b64 v[107:108], off, s4    ; 8-byte Folded Reload
	s_movk_i32 s4, 0x1100
	scratch_load_b64 v[89:90], off, s4      ; 8-byte Folded Reload
	s_mov_b32 exec_lo, s0
	s_cbranch_execz .LBB4_36
; %bb.27:
	v_cmp_gt_f64_e32 vcc_lo, 0, v[147:148]
	s_mov_b32 s4, 0
	s_branch .LBB4_29
.LBB4_28:                               ;   in Loop: Header=BB4_29 Depth=1
	s_or_b32 exec_lo, exec_lo, s0
	s_waitcnt vmcnt(0)
	v_cmp_gt_i32_e64 s0, 0, v2
	v_mov_b32_e32 v98, v2
	s_delay_alu instid0(VALU_DEP_2) | instskip(NEXT) | instid1(SALU_CYCLE_1)
	s_or_b32 s4, s0, s4
	s_and_not1_b32 exec_lo, exec_lo, s4
	s_cbranch_execz .LBB4_35
.LBB4_29:                               ; =>This Inner Loop Header: Depth=1
	s_clause 0x7
	scratch_load_b128 v[23:26], off, off offset:2032
	scratch_load_b128 v[27:30], off, off offset:2048
	;; [unrolled: 1-line block ×8, first 2 shown]
	v_cmp_eq_u32_e64 s0, 1, v98
	v_cmp_eq_u32_e64 s2, 2, v98
	v_dual_mov_b32 v8, v100 :: v_dual_mov_b32 v9, v101
	s_delay_alu instid0(VALU_DEP_3) | instskip(SKIP_2) | instid1(VALU_DEP_3)
	v_cndmask_b32_e64 v2, v110, v105, s0
	v_cndmask_b32_e64 v3, v109, v104, s0
	v_cmp_eq_u32_e64 s0, 3, v98
	v_cndmask_b32_e64 v2, v2, v9, s2
	s_delay_alu instid0(VALU_DEP_3)
	v_cndmask_b32_e64 v3, v3, v8, s2
	s_mov_b32 s2, 0
	s_waitcnt vmcnt(6)
	v_dual_mov_b32 v8, v29 :: v_dual_mov_b32 v9, v30
	s_clause 0x7
	scratch_load_b128 v[23:26], off, off offset:1392
	scratch_load_b128 v[27:30], off, off offset:1408
	;; [unrolled: 1-line block ×8, first 2 shown]
	v_cndmask_b32_e64 v3, v3, v8, s0
	v_cndmask_b32_e64 v2, v2, v9, s0
	v_cmp_eq_u32_e64 s0, 4, v98
	v_dual_mov_b32 v8, v150 :: v_dual_mov_b32 v9, v151
	s_delay_alu instid0(VALU_DEP_1) | instskip(NEXT) | instid1(VALU_DEP_2)
	v_cndmask_b32_e64 v3, v3, v8, s0
	v_cndmask_b32_e64 v2, v2, v9, s0
	v_cmp_eq_u32_e64 s0, 5, v98
	s_waitcnt vmcnt(5)
	s_delay_alu instid0(VALU_DEP_1)
	v_cndmask_b32_e64 v2, v2, v34, s0
	s_clause 0x7
	scratch_load_b128 v[23:26], off, off offset:1520
	scratch_load_b128 v[27:30], off, off offset:1536
	scratch_load_b128 v[31:34], off, off offset:1552
	scratch_load_b128 v[35:38], off, off offset:1568
	scratch_load_b128 v[39:42], off, off offset:1584
	scratch_load_b128 v[43:46], off, off offset:1600
	scratch_load_b128 v[47:50], off, off offset:1616
	scratch_load_b128 v[51:54], off, off offset:1632
	s_waitcnt vmcnt(5)
	v_cndmask_b32_e64 v3, v3, v33, s0
	s_clause 0x7
	scratch_load_b128 v[23:26], off, off offset:1264
	scratch_load_b128 v[27:30], off, off offset:1280
	scratch_load_b128 v[31:34], off, off offset:1296
	scratch_load_b128 v[35:38], off, off offset:1312
	scratch_load_b128 v[39:42], off, off offset:1328
	scratch_load_b128 v[43:46], off, off offset:1344
	scratch_load_b128 v[47:50], off, off offset:1360
	scratch_load_b128 v[51:54], off, off offset:1376
	v_cmp_eq_u32_e64 s0, 6, v98
	s_waitcnt vmcnt(4)
	s_delay_alu instid0(VALU_DEP_1)
	v_cndmask_b32_e64 v2, v2, v36, s0
	s_clause 0x7
	scratch_load_b128 v[23:26], off, off offset:1648
	scratch_load_b128 v[27:30], off, off offset:1664
	scratch_load_b128 v[31:34], off, off offset:1680
	scratch_load_b128 v[35:38], off, off offset:1696
	scratch_load_b128 v[39:42], off, off offset:1712
	scratch_load_b128 v[43:46], off, off offset:1728
	scratch_load_b128 v[47:50], off, off offset:1744
	scratch_load_b128 v[51:54], off, off offset:1760
	s_waitcnt vmcnt(4)
	v_cndmask_b32_e64 v3, v3, v35, s0
	s_clause 0x7
	scratch_load_b128 v[23:26], off, off offset:1136
	scratch_load_b128 v[27:30], off, off offset:1152
	scratch_load_b128 v[31:34], off, off offset:1168
	scratch_load_b128 v[35:38], off, off offset:1184
	scratch_load_b128 v[39:42], off, off offset:1200
	scratch_load_b128 v[43:46], off, off offset:1216
	scratch_load_b128 v[47:50], off, off offset:1232
	scratch_load_b128 v[51:54], off, off offset:1248
	;; [unrolled: 24-line block ×3, first 2 shown]
	v_cmp_eq_u32_e64 s0, 8, v98
	s_waitcnt vmcnt(3)
	s_delay_alu instid0(VALU_DEP_1)
	v_cndmask_b32_e64 v3, v2, v40, s0
	s_clause 0x7
	scratch_load_b128 v[23:26], off, off offset:1904
	scratch_load_b128 v[27:30], off, off offset:1920
	;; [unrolled: 1-line block ×8, first 2 shown]
	s_waitcnt vmcnt(3)
	v_cndmask_b32_e64 v2, v4, v39, s0
	v_lshl_add_u32 v4, v98, 2, v99
	s_delay_alu instid0(VALU_DEP_2) | instskip(SKIP_2) | instid1(SALU_CYCLE_1)
	v_cmp_ngt_f64_e64 s0, 0, v[2:3]
	scratch_load_b32 v2, v4, off
                                        ; implicit-def: $vgpr3
	s_and_saveexec_b32 s5, s0
	s_xor_b32 s5, exec_lo, s5
	s_cbranch_execnz .LBB4_32
; %bb.30:                               ;   in Loop: Header=BB4_29 Depth=1
	s_and_not1_saveexec_b32 s0, s5
	s_cbranch_execnz .LBB4_33
.LBB4_31:                               ;   in Loop: Header=BB4_29 Depth=1
	s_or_b32 exec_lo, exec_lo, s0
	s_and_saveexec_b32 s0, s2
	s_cbranch_execz .LBB4_28
	s_branch .LBB4_34
.LBB4_32:                               ;   in Loop: Header=BB4_29 Depth=1
	scratch_load_b32 v3, off, off offset:96
                                        ; implicit-def: $vgpr4
	s_waitcnt vmcnt(0)
	v_cmp_eq_u32_e64 s0, -1, v3
	v_mov_b32_e32 v3, 0x60
	s_delay_alu instid0(VALU_DEP_2)
	s_and_b32 s2, s0, exec_lo
	s_and_not1_saveexec_b32 s0, s5
	s_cbranch_execz .LBB4_31
.LBB4_33:                               ;   in Loop: Header=BB4_29 Depth=1
	scratch_load_b32 v8, off, off offset:100
	v_mov_b32_e32 v3, 0x64
	s_or_b32 s2, s2, exec_lo
	s_waitcnt vmcnt(0)
	scratch_store_b32 v4, v8, off
	s_or_b32 exec_lo, exec_lo, s0
	s_and_saveexec_b32 s0, s2
	s_cbranch_execz .LBB4_28
.LBB4_34:                               ;   in Loop: Header=BB4_29 Depth=1
	scratch_store_b32 v3, v98, off
	s_branch .LBB4_28
.LBB4_35:
	s_or_b32 exec_lo, exec_lo, s4
	s_delay_alu instid0(SALU_CYCLE_1)
	s_and_b32 s2, vcc_lo, exec_lo
.LBB4_36:
	s_or_b32 exec_lo, exec_lo, s3
	s_and_saveexec_b32 s0, s1
; %bb.37:
	v_cmp_gt_f64_e32 vcc_lo, 0, v[145:146]
	v_lshlrev_b32_e32 v0, 2, v132
	v_lshlrev_b32_e32 v1, 2, v149
	;; [unrolled: 1-line block ×3, first 2 shown]
	s_delay_alu instid0(VALU_DEP_3) | instskip(NEXT) | instid1(VALU_DEP_3)
	v_add3_u32 v0, 16, v0, 40
	v_add3_u32 v1, 16, v1, 40
	s_delay_alu instid0(VALU_DEP_3) | instskip(SKIP_1) | instid1(SALU_CYCLE_1)
	v_add3_u32 v2, 16, v2, 40
	s_or_b32 s1, vcc_lo, s2
	v_cndmask_b32_e64 v3, v133, -1, s1
	s_clause 0x2
	scratch_store_b32 v0, v149, off
	scratch_store_b32 v1, v22, off
	;; [unrolled: 1-line block ×3, first 2 shown]
; %bb.38:
	s_or_b32 exec_lo, exec_lo, s0
	s_clause 0x8
	scratch_load_b32 v133, off, off offset:96
	scratch_load_b128 v[18:21], off, off offset:112
	scratch_load_b128 v[22:25], off, off offset:128
	;; [unrolled: 1-line block ×8, first 2 shown]
	v_dual_mov_b32 v134, -1 :: v_dual_mov_b32 v137, -1
	s_waitcnt vmcnt(8)
	v_cmp_eq_u32_e32 vcc_lo, 1, v133
	s_waitcnt vmcnt(6)
	v_dual_mov_b32 v8, v24 :: v_dual_mov_b32 v9, v25
	s_clause 0x7
	scratch_load_b128 v[18:21], off, off offset:240
	scratch_load_b128 v[22:25], off, off offset:256
	;; [unrolled: 1-line block ×8, first 2 shown]
	v_cmp_eq_u32_e64 s0, 2, v133
	v_dual_cndmask_b32 v0, v90, v108 :: v_dual_cndmask_b32 v1, v89, v107
	v_cmp_eq_u32_e32 vcc_lo, 3, v133
	s_delay_alu instid0(VALU_DEP_2) | instskip(NEXT) | instid1(VALU_DEP_3)
	v_cndmask_b32_e64 v0, v0, v77, s0
	v_cndmask_b32_e64 v1, v1, v76, s0
	v_cmp_lt_i32_e64 s0, -1, v133
	s_delay_alu instid0(VALU_DEP_2) | instskip(SKIP_3) | instid1(VALU_DEP_1)
	v_dual_cndmask_b32 v0, v0, v9 :: v_dual_cndmask_b32 v1, v1, v8
	v_cmp_eq_u32_e32 vcc_lo, 4, v133
	s_waitcnt vmcnt(5)
	v_dual_mov_b32 v8, v26 :: v_dual_mov_b32 v9, v27
	v_dual_cndmask_b32 v1, v1, v8 :: v_dual_cndmask_b32 v0, v0, v9
	s_clause 0x7
	scratch_load_b128 v[2:5], off, off offset:2416
	scratch_load_b128 v[6:9], off, off offset:2432
	scratch_load_b128 v[10:13], off, off offset:2448
	scratch_load_b128 v[14:17], off, off offset:2464
	scratch_load_b128 v[18:21], off, off offset:2480
	scratch_load_b128 v[22:25], off, off offset:2496
	scratch_load_b128 v[26:29], off, off offset:2512
	scratch_load_b128 v[30:33], off, off offset:2528
	v_cmp_eq_u32_e32 vcc_lo, 5, v133
	s_waitcnt vmcnt(5)
	v_cndmask_b32_e32 v0, v0, v13, vcc_lo
	s_clause 0x7
	scratch_load_b128 v[2:5], off, off offset:2800
	scratch_load_b128 v[6:9], off, off offset:2816
	scratch_load_b128 v[10:13], off, off offset:2832
	scratch_load_b128 v[14:17], off, off offset:2848
	scratch_load_b128 v[18:21], off, off offset:2864
	scratch_load_b128 v[22:25], off, off offset:2880
	scratch_load_b128 v[26:29], off, off offset:2896
	scratch_load_b128 v[30:33], off, off offset:2912
	s_waitcnt vmcnt(5)
	v_cndmask_b32_e32 v1, v1, v12, vcc_lo
	s_clause 0x7
	scratch_load_b128 v[2:5], off, off offset:2288
	scratch_load_b128 v[6:9], off, off offset:2304
	scratch_load_b128 v[10:13], off, off offset:2320
	scratch_load_b128 v[14:17], off, off offset:2336
	scratch_load_b128 v[18:21], off, off offset:2352
	scratch_load_b128 v[22:25], off, off offset:2368
	scratch_load_b128 v[26:29], off, off offset:2384
	scratch_load_b128 v[30:33], off, off offset:2400
	v_cmp_eq_u32_e32 vcc_lo, 6, v133
	s_waitcnt vmcnt(4)
	v_cndmask_b32_e32 v0, v0, v15, vcc_lo
	s_clause 0x7
	scratch_load_b128 v[2:5], off, off offset:2672
	scratch_load_b128 v[6:9], off, off offset:2688
	scratch_load_b128 v[10:13], off, off offset:2704
	scratch_load_b128 v[14:17], off, off offset:2720
	scratch_load_b128 v[18:21], off, off offset:2736
	scratch_load_b128 v[22:25], off, off offset:2752
	scratch_load_b128 v[26:29], off, off offset:2768
	scratch_load_b128 v[30:33], off, off offset:2784
	s_waitcnt vmcnt(4)
	v_cndmask_b32_e32 v1, v1, v14, vcc_lo
	;; [unrolled: 23-line block ×3, first 2 shown]
	s_clause 0x7
	scratch_load_b128 v[2:5], off, off offset:752
	scratch_load_b128 v[6:9], off, off offset:768
	;; [unrolled: 1-line block ×8, first 2 shown]
	v_cmp_eq_u32_e32 vcc_lo, 8, v133
	s_waitcnt vmcnt(3)
	v_cndmask_b32_e32 v3, v0, v19, vcc_lo
	s_clause 0x7
	scratch_load_b128 v[4:7], off, off offset:880
	scratch_load_b128 v[8:11], off, off offset:896
	;; [unrolled: 1-line block ×8, first 2 shown]
	s_waitcnt vmcnt(7)
	v_mov_b32_e32 v4, -1
	s_waitcnt vmcnt(3)
	v_dual_mov_b32 v5, -1 :: v_dual_cndmask_b32 v2, v1, v20
	v_mov_b32_e32 v0, 0
	v_mov_b32_e32 v1, 0
	s_delay_alu instid0(VALU_DEP_3)
	v_dual_mov_b32 v9, v5 :: v_dual_mov_b32 v8, v4
	s_and_saveexec_b32 s5, s0
	s_cbranch_execz .LBB4_42
; %bb.39:
	s_clause 0x7
	scratch_load_b128 v[18:21], off, off offset:112
	scratch_load_b128 v[22:25], off, off offset:128
	scratch_load_b128 v[26:29], off, off offset:144
	scratch_load_b128 v[30:33], off, off offset:160
	scratch_load_b128 v[34:37], off, off offset:176
	scratch_load_b128 v[38:41], off, off offset:192
	scratch_load_b128 v[42:45], off, off offset:208
	scratch_load_b128 v[46:49], off, off offset:224
	v_mov_b32_e32 v10, v3
	v_dual_mov_b32 v134, -1 :: v_dual_mov_b32 v5, v133
	v_dual_mov_b32 v4, -1 :: v_dual_mov_b32 v137, -1
	v_dual_mov_b32 v8, -1 :: v_dual_mov_b32 v9, v2
	s_mov_b32 s6, 0
	s_waitcnt vmcnt(6)
	v_dual_mov_b32 v20, v24 :: v_dual_mov_b32 v21, v25
	s_clause 0x7
	scratch_load_b128 v[22:25], off, off offset:240
	scratch_load_b128 v[26:29], off, off offset:256
	scratch_load_b128 v[30:33], off, off offset:272
	scratch_load_b128 v[34:37], off, off offset:288
	scratch_load_b128 v[38:41], off, off offset:304
	scratch_load_b128 v[42:45], off, off offset:320
	scratch_load_b128 v[46:49], off, off offset:336
	scratch_load_b128 v[50:53], off, off offset:352
	s_waitcnt vmcnt(5)
	v_dual_mov_b32 v22, v30 :: v_dual_mov_b32 v23, v31
	s_clause 0x7
	scratch_load_b128 v[24:27], off, off offset:752
	scratch_load_b128 v[28:31], off, off offset:768
	scratch_load_b128 v[32:35], off, off offset:784
	scratch_load_b128 v[36:39], off, off offset:800
	scratch_load_b128 v[40:43], off, off offset:816
	scratch_load_b128 v[44:47], off, off offset:832
	scratch_load_b128 v[48:51], off, off offset:848
	scratch_load_b128 v[52:55], off, off offset:864
	s_waitcnt vmcnt(3)
	v_mov_b32_e32 v17, v41
	s_clause 0xf
	scratch_load_b128 v[24:27], off, off offset:2160
	scratch_load_b128 v[28:31], off, off offset:2176
	scratch_load_b128 v[32:35], off, off offset:2192
	scratch_load_b128 v[36:39], off, off offset:2208
	scratch_load_b128 v[40:43], off, off offset:2224
	scratch_load_b128 v[44:47], off, off offset:2240
	scratch_load_b128 v[48:51], off, off offset:2256
	scratch_load_b128 v[52:55], off, off offset:2272
	scratch_load_b128 v[40:43], off, off offset:2288
	scratch_load_b128 v[44:47], off, off offset:2304
	scratch_load_b128 v[48:51], off, off offset:2320
	scratch_load_b128 v[52:55], off, off offset:2336
	scratch_load_b128 v[56:59], off, off offset:2352
	scratch_load_b128 v[60:63], off, off offset:2368
	scratch_load_b128 v[64:67], off, off offset:2384
	scratch_load_b128 v[68:71], off, off offset:2400
	s_waitcnt vmcnt(4)
	v_dual_mov_b32 v16, v39 :: v_dual_mov_b32 v13, v53
	s_clause 0x7
	scratch_load_b128 v[40:43], off, off offset:2416
	scratch_load_b128 v[44:47], off, off offset:2432
	scratch_load_b128 v[48:51], off, off offset:2448
	scratch_load_b128 v[52:55], off, off offset:2464
	scratch_load_b128 v[56:59], off, off offset:2480
	scratch_load_b128 v[60:63], off, off offset:2496
	scratch_load_b128 v[64:67], off, off offset:2512
	scratch_load_b128 v[68:71], off, off offset:2528
	s_waitcnt vmcnt(5)
	v_mov_b32_e32 v11, v51
	s_clause 0xf
	scratch_load_b128 v[24:27], off, off offset:880
	scratch_load_b128 v[28:31], off, off offset:896
	scratch_load_b128 v[32:35], off, off offset:912
	scratch_load_b128 v[36:39], off, off offset:928
	scratch_load_b128 v[40:43], off, off offset:944
	scratch_load_b128 v[44:47], off, off offset:960
	scratch_load_b128 v[48:51], off, off offset:976
	scratch_load_b128 v[52:55], off, off offset:992
	;; [unrolled: 30-line block ×3, first 2 shown]
	s_waitcnt vmcnt(5)
	v_mov_b32_e32 v26, v51
.LBB4_40:                               ; =>This Inner Loop Header: Depth=1
	s_delay_alu instid0(VALU_DEP_1) | instskip(SKIP_4) | instid1(VALU_DEP_1)
	v_lshl_add_u32 v0, v5, 2, v99
	scratch_load_b32 v18, v0, off
	s_waitcnt vmcnt(0)
	v_cmp_gt_i32_e32 vcc_lo, 0, v18
	v_cndmask_b32_e32 v19, v18, v133, vcc_lo
	v_cmp_eq_u32_e64 s1, 1, v19
	v_cmp_eq_u32_e64 s2, 2, v19
	s_delay_alu instid0(VALU_DEP_2) | instskip(SKIP_2) | instid1(VALU_DEP_3)
	v_cndmask_b32_e64 v0, v90, v108, s1
	v_cndmask_b32_e64 v1, v89, v107, s1
	v_cmp_eq_u32_e64 s1, 3, v19
	v_cndmask_b32_e64 v0, v0, v77, s2
	s_delay_alu instid0(VALU_DEP_3) | instskip(NEXT) | instid1(VALU_DEP_2)
	v_cndmask_b32_e64 v1, v1, v76, s2
	v_cndmask_b32_e64 v0, v0, v21, s1
	s_delay_alu instid0(VALU_DEP_2) | instskip(SKIP_1) | instid1(VALU_DEP_1)
	v_cndmask_b32_e64 v1, v1, v20, s1
	v_cmp_eq_u32_e64 s1, 4, v19
	v_cndmask_b32_e64 v0, v0, v23, s1
	s_delay_alu instid0(VALU_DEP_3) | instskip(SKIP_1) | instid1(VALU_DEP_1)
	v_cndmask_b32_e64 v1, v1, v22, s1
	v_cmp_eq_u32_e64 s1, 5, v19
	v_cndmask_b32_e64 v0, v0, v11, s1
	s_delay_alu instid0(VALU_DEP_3) | instskip(SKIP_1) | instid1(VALU_DEP_1)
	;; [unrolled: 4-line block ×4, first 2 shown]
	v_cndmask_b32_e64 v1, v1, v25, s1
	v_cmp_eq_u32_e64 s1, 8, v19
	v_cndmask_b32_e64 v15, v0, v17, s1
	s_delay_alu instid0(VALU_DEP_3) | instskip(SKIP_1) | instid1(VALU_DEP_2)
	v_cndmask_b32_e64 v14, v1, v24, s1
	v_dual_mov_b32 v0, v9 :: v_dual_mov_b32 v1, v10
	v_dual_mov_b32 v9, v14 :: v_dual_mov_b32 v10, v15
	s_delay_alu instid0(VALU_DEP_2) | instskip(SKIP_3) | instid1(VALU_DEP_3)
	v_cmp_le_f64_e64 s1, 0, v[0:1]
	v_cmp_gt_f64_e64 s2, 0, v[14:15]
	v_cmp_gt_f64_e64 s3, 0, v[0:1]
	v_cmp_le_f64_e64 s4, 0, v[14:15]
	s_and_b32 s1, s1, s2
	s_delay_alu instid0(VALU_DEP_1)
	s_and_b32 s2, s3, s4
	v_cndmask_b32_e64 v8, v8, v19, s1
	v_cndmask_b32_e64 v137, v137, v19, s2
	;; [unrolled: 1-line block ×4, first 2 shown]
	v_mov_b32_e32 v5, v18
	s_or_b32 s6, vcc_lo, s6
	s_delay_alu instid0(SALU_CYCLE_1)
	s_and_not1_b32 exec_lo, exec_lo, s6
	s_cbranch_execnz .LBB4_40
; %bb.41:
	s_or_b32 exec_lo, exec_lo, s6
.LBB4_42:
	s_delay_alu instid0(SALU_CYCLE_1) | instskip(SKIP_3) | instid1(VALU_DEP_3)
	s_or_b32 exec_lo, exec_lo, s5
	v_cmp_lt_i32_e64 s1, -1, v134
	v_dual_mov_b32 v138, -1 :: v_dual_mov_b32 v5, -1
	v_mov_b32_e32 v10, -1
	s_and_saveexec_b32 s26, s1
	s_cbranch_execz .LBB4_44
; %bb.43:
	s_clause 0xf
	scratch_load_b128 v[32:35], off, off offset:112
	scratch_load_b128 v[36:39], off, off offset:128
	;; [unrolled: 1-line block ×16, first 2 shown]
	v_cmp_eq_u32_e64 s2, 1, v8
	v_cmp_eq_u32_e64 s3, 2, v8
	;; [unrolled: 1-line block ×5, first 2 shown]
	v_cndmask_b32_e64 v5, v90, v108, s2
	v_cmp_eq_u32_e64 s7, 6, v8
	v_cmp_eq_u32_e64 s8, 7, v8
	;; [unrolled: 1-line block ×3, first 2 shown]
	v_cndmask_b32_e64 v8, v89, v107, s2
	v_cndmask_b32_e64 v5, v5, v77, s3
	v_cmp_eq_u32_e64 s10, 1, v134
	v_cmp_eq_u32_e64 s11, 2, v134
	;; [unrolled: 1-line block ×3, first 2 shown]
	v_cndmask_b32_e64 v8, v8, v76, s3
	v_cmp_eq_u32_e64 s13, 4, v134
	v_cmp_eq_u32_e64 s14, 5, v134
	;; [unrolled: 1-line block ×5, first 2 shown]
	v_dual_mov_b32 v78, v89 :: v_dual_mov_b32 v79, v90
	s_waitcnt vmcnt(14)
	v_cndmask_b32_e64 v5, v5, v39, s4
	s_waitcnt vmcnt(5)
	v_dual_mov_b32 v35, v48 :: v_dual_mov_b32 v36, v49
	s_clause 0x7
	scratch_load_b128 v[40:43], off, off offset:2416
	scratch_load_b128 v[44:47], off, off offset:2432
	;; [unrolled: 1-line block ×8, first 2 shown]
	v_cndmask_b32_e64 v8, v8, v38, s4
	v_cndmask_b32_e64 v5, v5, v36, s5
	s_delay_alu instid0(VALU_DEP_2)
	v_cndmask_b32_e64 v8, v8, v35, s5
	s_waitcnt vmcnt(5)
	v_mov_b32_e32 v11, v51
	s_clause 0x7
	scratch_load_b128 v[40:43], off, off offset:2288
	scratch_load_b128 v[44:47], off, off offset:2304
	scratch_load_b128 v[48:51], off, off offset:2320
	scratch_load_b128 v[52:55], off, off offset:2336
	scratch_load_b128 v[56:59], off, off offset:2352
	scratch_load_b128 v[60:63], off, off offset:2368
	scratch_load_b128 v[64:67], off, off offset:2384
	scratch_load_b128 v[68:71], off, off offset:2400
	s_waitcnt vmcnt(4)
	v_mov_b32_e32 v13, v53
	s_clause 0x7
	scratch_load_b128 v[40:43], off, off offset:2160
	scratch_load_b128 v[44:47], off, off offset:2176
	scratch_load_b128 v[48:51], off, off offset:2192
	scratch_load_b128 v[52:55], off, off offset:2208
	scratch_load_b128 v[56:59], off, off offset:2224
	scratch_load_b128 v[60:63], off, off offset:2240
	scratch_load_b128 v[64:67], off, off offset:2256
	scratch_load_b128 v[68:71], off, off offset:2272
	;; [unrolled: 11-line block ×4, first 2 shown]
	v_cndmask_b32_e64 v5, v5, v11, s6
	v_cndmask_b32_e64 v8, v8, v10, s6
	s_waitcnt vmcnt(4)
	v_mov_b32_e32 v12, v52
	s_clause 0x7
	scratch_load_b128 v[40:43], off, off offset:2544
	scratch_load_b128 v[44:47], off, off offset:2560
	;; [unrolled: 1-line block ×8, first 2 shown]
	v_cndmask_b32_e64 v5, v5, v13, s7
	v_cndmask_b32_e64 v8, v8, v12, s7
	s_waitcnt vmcnt(4)
	v_mov_b32_e32 v37, v54
	s_clause 0x7
	scratch_load_b128 v[40:43], off, off offset:752
	scratch_load_b128 v[44:47], off, off offset:768
	;; [unrolled: 1-line block ×8, first 2 shown]
	s_waitcnt vmcnt(3)
	v_mov_b32_e32 v22, v57
	s_clause 0x7
	scratch_load_b128 v[40:43], off, off offset:880
	scratch_load_b128 v[44:47], off, off offset:896
	;; [unrolled: 1-line block ×8, first 2 shown]
	v_cndmask_b32_e64 v5, v5, v33, s8
	s_delay_alu instid0(VALU_DEP_1) | instskip(SKIP_1) | instid1(VALU_DEP_1)
	v_cndmask_b32_e64 v24, v5, v22, s9
	v_cndmask_b32_e64 v5, v90, v108, s10
	;; [unrolled: 1-line block ×3, first 2 shown]
	s_delay_alu instid0(VALU_DEP_1) | instskip(NEXT) | instid1(VALU_DEP_1)
	v_cndmask_b32_e64 v5, v5, v39, s12
	v_cndmask_b32_e64 v5, v5, v36, s13
	s_delay_alu instid0(VALU_DEP_1) | instskip(NEXT) | instid1(VALU_DEP_1)
	v_cndmask_b32_e64 v5, v5, v11, s14
	v_cndmask_b32_e64 v5, v5, v13, s15
	;; [unrolled: 3-line block ×3, first 2 shown]
	v_cndmask_b32_e64 v5, v110, v105, s10
	s_waitcnt vmcnt(3)
	v_mov_b32_e32 v34, v56
	s_clause 0x7
	scratch_load_b128 v[40:43], off, off offset:2032
	scratch_load_b128 v[44:47], off, off offset:2048
	;; [unrolled: 1-line block ×8, first 2 shown]
	v_cndmask_b32_e64 v8, v8, v37, s8
	s_delay_alu instid0(VALU_DEP_1) | instskip(SKIP_2) | instid1(VALU_DEP_3)
	v_cndmask_b32_e64 v23, v8, v34, s9
	v_cndmask_b32_e64 v8, v89, v107, s10
	v_dual_mov_b32 v88, v100 :: v_dual_mov_b32 v89, v101
	v_add_f64 v[14:15], -v[23:24], 0
	s_delay_alu instid0(VALU_DEP_3) | instskip(NEXT) | instid1(VALU_DEP_3)
	v_cndmask_b32_e64 v8, v8, v76, s11
	v_cndmask_b32_e64 v5, v5, v89, s11
	s_delay_alu instid0(VALU_DEP_2) | instskip(NEXT) | instid1(VALU_DEP_1)
	v_cndmask_b32_e64 v8, v8, v38, s12
	v_cndmask_b32_e64 v8, v8, v35, s13
	s_delay_alu instid0(VALU_DEP_1) | instskip(NEXT) | instid1(VALU_DEP_1)
	v_cndmask_b32_e64 v8, v8, v10, s14
	v_cndmask_b32_e64 v8, v8, v12, s15
	s_delay_alu instid0(VALU_DEP_1) | instskip(NEXT) | instid1(VALU_DEP_1)
	v_cndmask_b32_e64 v8, v8, v37, s16
	v_cndmask_b32_e64 v25, v8, v34, s19
	;; [unrolled: 1-line block ×3, first 2 shown]
	s_delay_alu instid0(VALU_DEP_2) | instskip(NEXT) | instid1(VALU_DEP_2)
	v_add_f64 v[18:19], v[25:26], -v[23:24]
	v_cndmask_b32_e64 v8, v8, v88, s11
	s_delay_alu instid0(VALU_DEP_2) | instskip(NEXT) | instid1(VALU_DEP_1)
	v_div_scale_f64 v[20:21], null, v[18:19], v[18:19], v[14:15]
	v_rcp_f64_e32 v[27:28], v[20:21]
	s_waitcnt_depctr 0xfff
	v_fma_f64 v[29:30], -v[20:21], v[27:28], 1.0
	s_delay_alu instid0(VALU_DEP_1) | instskip(NEXT) | instid1(VALU_DEP_1)
	v_fma_f64 v[27:28], v[27:28], v[29:30], v[27:28]
	v_fma_f64 v[29:30], -v[20:21], v[27:28], 1.0
	s_delay_alu instid0(VALU_DEP_1) | instskip(SKIP_1) | instid1(VALU_DEP_1)
	v_fma_f64 v[27:28], v[27:28], v[29:30], v[27:28]
	v_div_scale_f64 v[29:30], vcc_lo, v[14:15], v[18:19], v[14:15]
	v_mul_f64 v[31:32], v[29:30], v[27:28]
	s_waitcnt vmcnt(6)
	v_dual_mov_b32 v16, v46 :: v_dual_mov_b32 v17, v47
	s_clause 0x7
	scratch_load_b128 v[40:43], off, off offset:1392
	scratch_load_b128 v[44:47], off, off offset:1408
	;; [unrolled: 1-line block ×8, first 2 shown]
	v_cndmask_b32_e64 v8, v8, v16, s12
	v_cndmask_b32_e64 v5, v5, v17, s12
	s_delay_alu instid0(VALU_DEP_2) | instskip(NEXT) | instid1(VALU_DEP_2)
	v_cndmask_b32_e64 v8, v8, v150, s13
	v_cndmask_b32_e64 v5, v5, v151, s13
	v_fma_f64 v[20:21], -v[20:21], v[31:32], v[29:30]
	s_delay_alu instid0(VALU_DEP_1) | instskip(NEXT) | instid1(VALU_DEP_1)
	v_div_fmas_f64 v[20:21], v[20:21], v[27:28], v[31:32]
	v_div_fixup_f64 v[86:87], v[20:21], v[18:19], v[14:15]
	s_delay_alu instid0(VALU_DEP_1) | instskip(NEXT) | instid1(VALU_DEP_1)
	v_add_f64 v[80:81], -v[86:87], 1.0
	v_mul_f64 v[23:24], v[23:24], v[80:81]
	s_delay_alu instid0(VALU_DEP_1)
	v_fma_f64 v[82:83], v[25:26], v[86:87], v[23:24]
	s_waitcnt vmcnt(5)
	v_mov_b32_e32 v28, v51
	s_clause 0x7
	scratch_load_b128 v[40:43], off, off offset:1520
	scratch_load_b128 v[44:47], off, off offset:1536
	;; [unrolled: 1-line block ×8, first 2 shown]
	s_waitcnt vmcnt(5)
	v_mov_b32_e32 v29, v50
	s_clause 0x7
	scratch_load_b128 v[40:43], off, off offset:1264
	scratch_load_b128 v[44:47], off, off offset:1280
	scratch_load_b128 v[48:51], off, off offset:1296
	scratch_load_b128 v[52:55], off, off offset:1312
	scratch_load_b128 v[56:59], off, off offset:1328
	scratch_load_b128 v[60:63], off, off offset:1344
	scratch_load_b128 v[64:67], off, off offset:1360
	scratch_load_b128 v[68:71], off, off offset:1376
	v_cndmask_b32_e64 v5, v5, v28, s14
	v_cndmask_b32_e64 v8, v8, v29, s14
	s_waitcnt vmcnt(4)
	v_mov_b32_e32 v27, v53
	s_clause 0x7
	scratch_load_b128 v[40:43], off, off offset:1648
	scratch_load_b128 v[44:47], off, off offset:1664
	;; [unrolled: 1-line block ×8, first 2 shown]
	s_waitcnt vmcnt(4)
	v_mov_b32_e32 v30, v52
	s_clause 0x7
	scratch_load_b128 v[40:43], off, off offset:1136
	scratch_load_b128 v[44:47], off, off offset:1152
	scratch_load_b128 v[48:51], off, off offset:1168
	scratch_load_b128 v[52:55], off, off offset:1184
	scratch_load_b128 v[56:59], off, off offset:1200
	scratch_load_b128 v[60:63], off, off offset:1216
	scratch_load_b128 v[64:67], off, off offset:1232
	scratch_load_b128 v[68:71], off, off offset:1248
	v_cndmask_b32_e64 v5, v5, v27, s15
	v_cndmask_b32_e64 v8, v8, v30, s15
	s_waitcnt vmcnt(4)
	v_mov_b32_e32 v21, v55
	s_clause 0x7
	scratch_load_b128 v[40:43], off, off offset:1776
	scratch_load_b128 v[44:47], off, off offset:1792
	scratch_load_b128 v[48:51], off, off offset:1808
	scratch_load_b128 v[52:55], off, off offset:1824
	scratch_load_b128 v[56:59], off, off offset:1840
	scratch_load_b128 v[60:63], off, off offset:1856
	scratch_load_b128 v[64:67], off, off offset:1872
	scratch_load_b128 v[68:71], off, off offset:1888
	s_waitcnt vmcnt(4)
	v_mov_b32_e32 v31, v54
	s_clause 0x7
	scratch_load_b128 v[40:43], off, off offset:1008
	scratch_load_b128 v[44:47], off, off offset:1024
	scratch_load_b128 v[48:51], off, off offset:1040
	scratch_load_b128 v[52:55], off, off offset:1056
	scratch_load_b128 v[56:59], off, off offset:1072
	scratch_load_b128 v[60:63], off, off offset:1088
	scratch_load_b128 v[64:67], off, off offset:1104
	scratch_load_b128 v[68:71], off, off offset:1120
	;; [unrolled: 11-line block ×3, first 2 shown]
	v_cndmask_b32_e64 v5, v5, v21, s16
	s_delay_alu instid0(VALU_DEP_1) | instskip(SKIP_1) | instid1(VALU_DEP_1)
	v_cndmask_b32_e64 v15, v5, v20, s19
	v_cndmask_b32_e64 v5, v110, v105, s2
	;; [unrolled: 1-line block ×3, first 2 shown]
	s_delay_alu instid0(VALU_DEP_1) | instskip(NEXT) | instid1(VALU_DEP_1)
	v_cndmask_b32_e64 v5, v5, v17, s4
	v_cndmask_b32_e64 v5, v5, v151, s5
	s_delay_alu instid0(VALU_DEP_1) | instskip(NEXT) | instid1(VALU_DEP_1)
	v_cndmask_b32_e64 v5, v5, v28, s6
	v_cndmask_b32_e64 v5, v5, v27, s7
	;; [unrolled: 3-line block ×3, first 2 shown]
	scratch_load_b32 v5, off, off offset:100
	s_waitcnt vmcnt(4)
	v_mov_b32_e32 v32, v56
	s_clause 0x7
	scratch_load_b128 v[40:43], off, off offset:3824
	scratch_load_b128 v[44:47], off, off offset:3840
	;; [unrolled: 1-line block ×8, first 2 shown]
	v_cndmask_b32_e64 v8, v8, v31, s16
	s_delay_alu instid0(VALU_DEP_1) | instskip(SKIP_1) | instid1(VALU_DEP_1)
	v_cndmask_b32_e64 v14, v8, v32, s19
	v_cndmask_b32_e64 v8, v109, v104, s2
	;; [unrolled: 1-line block ×3, first 2 shown]
	s_delay_alu instid0(VALU_DEP_1) | instskip(NEXT) | instid1(VALU_DEP_1)
	v_cndmask_b32_e64 v8, v8, v16, s4
	v_cndmask_b32_e64 v8, v8, v150, s5
	s_delay_alu instid0(VALU_DEP_1) | instskip(NEXT) | instid1(VALU_DEP_1)
	v_cndmask_b32_e64 v8, v8, v29, s6
	v_cndmask_b32_e64 v8, v8, v30, s7
	;; [unrolled: 3-line block ×3, first 2 shown]
	s_waitcnt vmcnt(8)
	v_cmp_eq_u32_e32 vcc_lo, 8, v5
	v_cmp_eq_u32_e64 s17, 3, v5
	v_cmp_eq_u32_e64 s20, 7, v5
	;; [unrolled: 1-line block ×3, first 2 shown]
	v_mul_f64 v[18:19], v[18:19], v[80:81]
	v_cmp_eq_u32_e64 s22, 5, v5
	v_cndmask_b32_e64 v132, v39, v83, s17
	v_cndmask_b32_e64 v39, v251, v253, s2
	v_cmp_eq_u32_e64 s18, 4, v5
	v_cndmask_b32_e64 v113, v37, v82, s20
	v_cndmask_b32_e64 v121, v33, v83, s20
	;; [unrolled: 1-line block ×10, first 2 shown]
	v_cndmask_b32_e32 v122, v22, v83, vcc_lo
	v_cndmask_b32_e64 v118, v13, v83, s21
	v_cndmask_b32_e64 v10, v10, v246, s3
	;; [unrolled: 1-line block ×4, first 2 shown]
	s_delay_alu instid0(VALU_DEP_3) | instskip(NEXT) | instid1(VALU_DEP_1)
	v_cndmask_b32_e64 v10, v10, v176, s4
	v_cndmask_b32_e64 v10, v10, v136, s5
	v_fma_f64 v[92:93], v[14:15], v[86:87], v[18:19]
	s_delay_alu instid0(VALU_DEP_1)
	v_cndmask_b32_e32 v140, v32, v92, vcc_lo
	v_cndmask_b32_e64 v141, v31, v92, s20
	v_cndmask_b32_e64 v139, v30, v92, s21
	;; [unrolled: 1-line block ×10, first 2 shown]
	s_waitcnt vmcnt(5)
	v_mov_b32_e32 v75, v51
	s_clause 0x7
	scratch_load_b128 v[40:43], off, off offset:624
	scratch_load_b128 v[44:47], off, off offset:640
	;; [unrolled: 1-line block ×8, first 2 shown]
	v_cndmask_b32_e32 v146, v20, v93, vcc_lo
	v_cndmask_b32_e64 v10, v10, v75, s6
	s_waitcnt vmcnt(5)
	v_mov_b32_e32 v91, v50
	s_clause 0x7
	scratch_load_b128 v[40:43], off, off offset:3696
	scratch_load_b128 v[44:47], off, off offset:3712
	scratch_load_b128 v[48:51], off, off offset:3728
	scratch_load_b128 v[52:55], off, off offset:3744
	scratch_load_b128 v[56:59], off, off offset:3760
	scratch_load_b128 v[60:63], off, off offset:3776
	scratch_load_b128 v[64:67], off, off offset:3792
	scratch_load_b128 v[68:71], off, off offset:3808
	v_cndmask_b32_e64 v39, v39, v91, s6
	s_waitcnt vmcnt(4)
	v_mov_b32_e32 v84, v53
	s_clause 0x7
	scratch_load_b128 v[40:43], off, off offset:496
	scratch_load_b128 v[44:47], off, off offset:512
	scratch_load_b128 v[48:51], off, off offset:528
	scratch_load_b128 v[52:55], off, off offset:544
	scratch_load_b128 v[56:59], off, off offset:560
	scratch_load_b128 v[60:63], off, off offset:576
	scratch_load_b128 v[64:67], off, off offset:592
	scratch_load_b128 v[68:71], off, off offset:608
	;; [unrolled: 12-line block ×3, first 2 shown]
	v_cndmask_b32_e32 v114, v34, v82, vcc_lo
	v_cndmask_b32_e64 v39, v39, v90, s7
	s_waitcnt vmcnt(4)
	v_mov_b32_e32 v85, v56
	s_clause 0x7
	scratch_load_b128 v[43:46], off, off offset:368
	scratch_load_b128 v[47:50], off, off offset:384
	;; [unrolled: 1-line block ×8, first 2 shown]
	v_cndmask_b32_e64 v10, v10, v85, s8
	s_waitcnt vmcnt(4)
	v_cndmask_b32_e64 v55, v39, v57, s8
	s_clause 0x7
	scratch_load_b128 v[23:26], off, off offset:3440
	scratch_load_b128 v[27:30], off, off offset:3456
	;; [unrolled: 1-line block ×8, first 2 shown]
	s_waitcnt vmcnt(3)
	v_cndmask_b32_e64 v39, v251, v253, s10
	s_waitcnt vmcnt(1)
	v_cndmask_b32_e64 v49, v248, v166, s2
	s_delay_alu instid0(VALU_DEP_2) | instskip(NEXT) | instid1(VALU_DEP_2)
	v_cndmask_b32_e64 v39, v39, v245, s11
	v_cndmask_b32_e64 v49, v49, v164, s3
	s_delay_alu instid0(VALU_DEP_2) | instskip(NEXT) | instid1(VALU_DEP_2)
	v_cndmask_b32_e64 v39, v39, v175, s12
	;; [unrolled: 3-line block ×4, first 2 shown]
	v_cndmask_b32_e64 v49, v49, v223, s6
	s_delay_alu instid0(VALU_DEP_2) | instskip(NEXT) | instid1(VALU_DEP_1)
	v_cndmask_b32_e64 v39, v39, v90, s15
	v_cndmask_b32_e64 v39, v39, v57, s16
	;; [unrolled: 1-line block ×3, first 2 shown]
	s_clause 0x7
	scratch_load_b128 v[7:10], off, off offset:3952
	scratch_load_b128 v[11:14], off, off offset:3968
	scratch_load_b128 v[15:18], off, off offset:3984
	scratch_load_b128 v[19:22], off, off offset:4000
	scratch_load_b128 v[23:26], off, off offset:4016
	scratch_load_b128 v[27:30], off, off offset:4032
	scratch_load_b128 v[31:34], off, off offset:4048
	scratch_load_b128 v[35:38], off, off offset:4064
	s_waitcnt vmcnt(7)
	v_cndmask_b32_e64 v10, v252, v254, s10
	s_delay_alu instid0(VALU_DEP_1) | instskip(NEXT) | instid1(VALU_DEP_1)
	v_cndmask_b32_e64 v10, v10, v246, s11
	v_cndmask_b32_e64 v10, v10, v176, s12
	s_delay_alu instid0(VALU_DEP_1) | instskip(NEXT) | instid1(VALU_DEP_1)
	v_cndmask_b32_e64 v10, v10, v136, s13
	v_cndmask_b32_e64 v10, v10, v75, s14
	s_delay_alu instid0(VALU_DEP_1) | instskip(NEXT) | instid1(VALU_DEP_1)
	v_cndmask_b32_e64 v10, v10, v84, s15
	v_cndmask_b32_e64 v10, v10, v85, s16
	s_delay_alu instid0(VALU_DEP_1) | instskip(SKIP_2) | instid1(VALU_DEP_1)
	v_cndmask_b32_e64 v45, v10, v40, s19
	v_cndmask_b32_e64 v10, v249, v167, s2
	s_movk_i32 s2, 0xff0
	v_cndmask_b32_e64 v10, v10, v165, s3
	v_cmp_eq_u32_e64 s3, 4, v137
	s_delay_alu instid0(VALU_DEP_2) | instskip(SKIP_1) | instid1(VALU_DEP_2)
	v_cndmask_b32_e64 v10, v10, v116, s4
	v_cmp_eq_u32_e64 s4, 8, v137
	v_cndmask_b32_e64 v10, v10, v126, s5
	v_cmp_eq_u32_e64 s5, 7, v137
	s_waitcnt vmcnt(3)
	v_cndmask_b32_e64 v42, v55, v23, s9
	v_cndmask_b32_e64 v44, v39, v23, s19
	s_delay_alu instid0(VALU_DEP_2) | instskip(NEXT) | instid1(VALU_DEP_1)
	v_mul_f64 v[42:43], v[42:43], v[80:81]
	v_fma_f64 v[71:72], v[44:45], v[86:87], v[42:43]
	s_delay_alu instid0(VALU_DEP_1) | instskip(NEXT) | instid1(VALU_DEP_2)
	v_cndmask_b32_e64 v6, v175, v71, s17
	v_cndmask_b32_e64 v7, v176, v72, s17
	s_clause 0x7
	scratch_load_b128 v[168:171], off, off offset:3056
	scratch_load_b128 v[172:175], off, off offset:3072
	;; [unrolled: 1-line block ×8, first 2 shown]
	v_cndmask_b32_e64 v43, v57, v71, s20
	v_cndmask_b32_e64 v47, v85, v72, s20
	;; [unrolled: 1-line block ×4, first 2 shown]
	v_cndmask_b32_e32 v44, v23, v71, vcc_lo
	v_cndmask_b32_e32 v48, v40, v72, vcc_lo
	v_cndmask_b32_e64 v16, v135, v71, s18
	v_cndmask_b32_e64 v17, v136, v72, s18
	s_waitcnt vmcnt(5)
	v_mov_b32_e32 v11, v179
	s_clause 0x7
	scratch_load_b128 v[168:171], off, off offset:2928
	scratch_load_b128 v[172:175], off, off offset:2944
	;; [unrolled: 1-line block ×8, first 2 shown]
	v_cndmask_b32_e64 v10, v10, v11, s6
	v_cmp_eq_u32_e64 s6, 5, v137
	s_waitcnt vmcnt(4)
	v_mov_b32_e32 v13, v181
	s_clause 0x7
	scratch_load_b128 v[168:171], off, off offset:3312
	scratch_load_b128 v[172:175], off, off offset:3328
	;; [unrolled: 1-line block ×8, first 2 shown]
	v_cndmask_b32_e64 v42, v90, v71, s21
	v_dual_mov_b32 v90, v109 :: v_dual_mov_b32 v91, v110
	v_cndmask_b32_e64 v10, v10, v13, s7
	s_waitcnt vmcnt(4)
	v_mov_b32_e32 v12, v180
	s_clause 0x7
	scratch_load_b128 v[168:171], off, s2
	scratch_load_b128 v[172:175], off, s2 offset:16
	scratch_load_b128 v[176:179], off, s2 offset:32
	;; [unrolled: 1-line block ×7, first 2 shown]
	s_movk_i32 s2, 0x1070
	v_cndmask_b32_e64 v49, v49, v12, s7
	v_cmp_eq_u32_e64 s7, 3, v137
	s_waitcnt vmcnt(4)
	v_mov_b32_e32 v15, v183
	s_clause 0x7
	scratch_load_b128 v[168:171], off, off offset:3184
	scratch_load_b128 v[172:175], off, off offset:3200
	;; [unrolled: 1-line block ×8, first 2 shown]
	v_cndmask_b32_e64 v46, v84, v72, s21
	v_cndmask_b32_e64 v10, v10, v15, s8
	s_waitcnt vmcnt(4)
	v_mov_b32_e32 v14, v182
	s_clause 0x7
	scratch_load_b128 v[168:171], off, s2
	scratch_load_b128 v[172:175], off, s2 offset:16
	scratch_load_b128 v[176:179], off, s2 offset:32
	;; [unrolled: 1-line block ×7, first 2 shown]
	v_cmp_eq_u32_e64 s2, 6, v137
	v_cndmask_b32_e64 v49, v49, v14, s8
	v_cmp_eq_u32_e64 s8, 2, v137
	s_delay_alu instid0(VALU_DEP_2) | instskip(SKIP_1) | instid1(VALU_DEP_1)
	v_cndmask_b32_e64 v56, v49, v201, s9
	v_cndmask_b32_e64 v49, v248, v166, s10
	;; [unrolled: 1-line block ×3, first 2 shown]
	s_delay_alu instid0(VALU_DEP_1) | instskip(NEXT) | instid1(VALU_DEP_1)
	v_cndmask_b32_e64 v49, v49, v115, s12
	v_cndmask_b32_e64 v49, v49, v125, s13
	s_delay_alu instid0(VALU_DEP_1) | instskip(NEXT) | instid1(VALU_DEP_1)
	v_cndmask_b32_e64 v49, v49, v223, s14
	v_cndmask_b32_e64 v49, v49, v12, s15
	s_delay_alu instid0(VALU_DEP_1) | instskip(SKIP_2) | instid1(VALU_DEP_1)
	v_cndmask_b32_e64 v49, v49, v14, s16
	s_waitcnt vmcnt(3)
	v_mov_b32_e32 v18, v185
	v_cndmask_b32_e64 v57, v10, v18, s9
	v_cndmask_b32_e64 v10, v249, v167, s10
	v_cmp_eq_u32_e64 s9, 3, v4
	v_cmp_eq_u32_e64 s10, 5, v4
	s_delay_alu instid0(VALU_DEP_4) | instskip(NEXT) | instid1(VALU_DEP_4)
	v_mul_f64 v[54:55], v[56:57], v[80:81]
	v_cndmask_b32_e64 v10, v10, v165, s11
	v_cndmask_b32_e64 v56, v49, v201, s19
	v_cmp_eq_u32_e64 s11, 7, v4
	s_delay_alu instid0(VALU_DEP_3) | instskip(SKIP_1) | instid1(VALU_DEP_2)
	v_cndmask_b32_e64 v10, v10, v116, s12
	v_cmp_eq_u32_e64 s12, 4, v4
	v_cndmask_b32_e64 v10, v10, v126, s13
	v_cmp_eq_u32_e64 s13, 6, v4
	s_delay_alu instid0(VALU_DEP_2) | instskip(SKIP_1) | instid1(VALU_DEP_2)
	v_cndmask_b32_e64 v10, v10, v11, s14
	v_cmp_eq_u32_e64 s14, 8, v4
	v_cndmask_b32_e64 v10, v10, v13, s15
	v_cmp_eq_u32_e64 s15, 1, v4
	s_delay_alu instid0(VALU_DEP_2) | instskip(SKIP_1) | instid1(VALU_DEP_2)
	v_cndmask_b32_e64 v10, v10, v15, s16
	v_cmp_eq_u32_e64 s16, 2, v4
	v_cndmask_b32_e64 v57, v10, v18, s19
	v_cmp_eq_u32_e64 s19, 1, v137
	v_lshlrev_b32_e32 v10, 2, v5
	s_delay_alu instid0(VALU_DEP_3) | instskip(NEXT) | instid1(VALU_DEP_2)
	v_fma_f64 v[73:74], v[56:57], v[86:87], v[54:55]
	v_add3_u32 v10, 16, v10, 40
	scratch_load_b32 v10, v10, off
	v_cndmask_b32_e64 v53, v14, v73, s20
	v_cndmask_b32_e64 v52, v12, v73, s21
	;; [unrolled: 1-line block ×4, first 2 shown]
	v_cmp_eq_u32_e64 s20, 1, v5
	v_cmp_eq_u32_e64 s21, 0, v5
	v_cndmask_b32_e64 v49, v223, v73, s22
	v_cndmask_b32_e64 v55, v11, v74, s22
	v_cmp_eq_u32_e64 s22, 2, v5
	v_cndmask_b32_e64 v59, v107, v82, s20
	v_cndmask_b32_e64 v62, v108, v83, s20
	;; [unrolled: 1-line block ×6, first 2 shown]
	v_cndmask_b32_e32 v54, v201, v73, vcc_lo
	v_cndmask_b32_e64 v69, v61, v62, s15
	v_cndmask_b32_e64 v70, v60, v59, s15
	;; [unrolled: 1-line block ×4, first 2 shown]
	v_cndmask_b32_e32 v58, v18, v74, vcc_lo
	v_cndmask_b32_e64 v69, v69, v67, s16
	v_cndmask_b32_e64 v70, v70, v66, s16
	v_cndmask_b32_e64 v75, v75, v67, s8
	v_cndmask_b32_e64 v76, v76, v66, s8
	v_cndmask_b32_e64 v65, v88, v92, s22
	v_cndmask_b32_e64 v69, v69, v132, s9
	v_cndmask_b32_e64 v70, v70, v130, s9
	v_cndmask_b32_e64 v75, v75, v132, s7
	v_cndmask_b32_e64 v76, v76, v130, s7
	v_cndmask_b32_e64 v63, v90, v92, s21
	v_cndmask_b32_e64 v69, v69, v131, s12
	v_cndmask_b32_e64 v70, v70, v129, s12
	v_cndmask_b32_e64 v75, v75, v131, s3
	v_cndmask_b32_e64 v76, v76, v129, s3
	v_mov_b32_e32 v90, v105
	v_cndmask_b32_e64 v69, v69, v117, s10
	v_cndmask_b32_e64 v70, v70, v111, s10
	;; [unrolled: 1-line block ×21, first 2 shown]
	v_add_f64 v[77:78], -v[69:70], 0
	v_cndmask_b32_e64 v94, v116, v74, s17
	v_add_f64 v[79:80], v[75:76], -v[69:70]
	v_cndmask_b32_e64 v51, v51, v123, s12
	v_cndmask_b32_e64 v95, v165, v74, s22
	v_cndmask_b32_e64 v96, v167, v74, s20
	v_cndmask_b32_e64 v106, v249, v74, s21
	s_delay_alu instid0(VALU_DEP_4) | instskip(NEXT) | instid1(VALU_DEP_2)
	v_cndmask_b32_e64 v51, v51, v142, s10
	v_cndmask_b32_e64 v101, v106, v96, s15
	;; [unrolled: 1-line block ×3, first 2 shown]
	s_delay_alu instid0(VALU_DEP_3) | instskip(NEXT) | instid1(VALU_DEP_2)
	v_cndmask_b32_e64 v51, v51, v139, s13
	v_cndmask_b32_e64 v99, v99, v95, s8
	v_div_scale_f64 v[81:82], null, v[79:80], v[79:80], v[77:78]
	v_div_scale_f64 v[87:88], vcc_lo, v[77:78], v[79:80], v[77:78]
	s_delay_alu instid0(VALU_DEP_2) | instskip(SKIP_2) | instid1(VALU_DEP_1)
	v_rcp_f64_e32 v[83:84], v[81:82]
	s_waitcnt_depctr 0xfff
	v_fma_f64 v[85:86], -v[81:82], v[83:84], 1.0
	v_fma_f64 v[83:84], v[83:84], v[85:86], v[83:84]
	s_delay_alu instid0(VALU_DEP_1) | instskip(NEXT) | instid1(VALU_DEP_1)
	v_fma_f64 v[85:86], -v[81:82], v[83:84], 1.0
	v_fma_f64 v[83:84], v[83:84], v[85:86], v[83:84]
	s_delay_alu instid0(VALU_DEP_1) | instskip(NEXT) | instid1(VALU_DEP_1)
	v_mul_f64 v[85:86], v[87:88], v[83:84]
	v_fma_f64 v[81:82], -v[81:82], v[85:86], v[87:88]
	v_cndmask_b32_e64 v88, v254, v72, s20
	v_cndmask_b32_e64 v87, v246, v72, s22
	s_delay_alu instid0(VALU_DEP_3)
	v_div_fmas_f64 v[81:82], v[81:82], v[83:84], v[85:86]
	v_cndmask_b32_e64 v83, v91, v93, s21
	v_cndmask_b32_e64 v85, v253, v71, s20
	;; [unrolled: 1-line block ×6, first 2 shown]
	s_waitcnt vmcnt(0)
	v_cmp_eq_u32_e32 vcc_lo, 3, v10
	v_cndmask_b32_e64 v98, v86, v85, s15
	s_delay_alu instid0(VALU_DEP_3) | instskip(NEXT) | instid1(VALU_DEP_1)
	v_cndmask_b32_e64 v71, v71, v65, s8
	v_cndmask_b32_e64 v71, v71, v124, s7
	s_delay_alu instid0(VALU_DEP_1)
	v_cndmask_b32_e64 v104, v71, v123, s3
	v_div_fixup_f64 v[77:78], v[81:82], v[79:80], v[77:78]
	v_cndmask_b32_e64 v82, v90, v93, s20
	v_cndmask_b32_e64 v81, v89, v93, s22
	;; [unrolled: 1-line block ×37, first 2 shown]
	v_add_f64 v[40:41], -v[77:78], 1.0
	v_cndmask_b32_e64 v74, v74, v42, s13
	v_cndmask_b32_e64 v98, v98, v55, s10
	;; [unrolled: 1-line block ×18, first 2 shown]
	s_delay_alu instid0(VALU_DEP_3) | instskip(NEXT) | instid1(VALU_DEP_3)
	v_cndmask_b32_e64 v72, v101, v54, s14
	v_cndmask_b32_e64 v102, v102, v17, s3
	s_delay_alu instid0(VALU_DEP_3)
	v_cndmask_b32_e64 v100, v100, v91, s8
	v_mul_f64 v[50:51], v[50:51], v[40:41]
	v_mul_f64 v[68:69], v[69:70], v[40:41]
	v_cndmask_b32_e64 v70, v74, v44, s14
	v_cndmask_b32_e64 v74, v104, v142, s6
	;; [unrolled: 1-line block ×5, first 2 shown]
	v_mul_f64 v[70:71], v[70:71], v[40:41]
	v_cndmask_b32_e64 v74, v74, v139, s2
	v_cndmask_b32_e64 v101, v104, v145, s5
	v_mul_f64 v[40:41], v[72:73], v[40:41]
	v_cndmask_b32_e64 v98, v98, v16, s3
	s_delay_alu instid0(VALU_DEP_4) | instskip(NEXT) | instid1(VALU_DEP_4)
	v_cndmask_b32_e64 v74, v74, v141, s5
	v_cndmask_b32_e64 v73, v101, v146, s4
	s_delay_alu instid0(VALU_DEP_3) | instskip(NEXT) | instid1(VALU_DEP_3)
	v_cndmask_b32_e64 v98, v98, v39, s6
	v_cndmask_b32_e64 v72, v74, v140, s4
	;; [unrolled: 1-line block ×6, first 2 shown]
	s_delay_alu instid0(VALU_DEP_1)
	v_cndmask_b32_e64 v98, v98, v43, s5
	v_fma_f64 v[72:73], v[72:73], v[77:78], v[50:51]
	v_cndmask_b32_e64 v50, v74, v80, s3
	v_cndmask_b32_e64 v51, v99, v79, s3
	v_cndmask_b32_e64 v74, v100, v46, s2
	v_fma_f64 v[68:69], v[75:76], v[77:78], v[68:69]
	v_mov_b32_e32 v99, v97
	v_cndmask_b32_e64 v50, v50, v55, s6
	v_cndmask_b32_e64 v51, v51, v49, s6
	;; [unrolled: 1-line block ×3, first 2 shown]
	v_cmp_eq_u32_e64 s3, 2, v10
	s_delay_alu instid0(VALU_DEP_4) | instskip(NEXT) | instid1(VALU_DEP_4)
	v_cndmask_b32_e64 v75, v50, v56, s2
	v_cndmask_b32_e64 v76, v51, v52, s2
	s_delay_alu instid0(VALU_DEP_4)
	v_cndmask_b32_e64 v51, v74, v48, s4
	v_cndmask_b32_e64 v50, v98, v44, s4
	v_cmp_eq_u32_e64 s2, 4, v10
	v_cndmask_b32_e64 v74, v75, v57, s5
	v_cndmask_b32_e64 v75, v76, v53, s5
	v_cmp_eq_u32_e64 s5, 0, v10
	v_fma_f64 v[70:71], v[50:51], v[77:78], v[70:71]
	s_delay_alu instid0(VALU_DEP_4) | instskip(NEXT) | instid1(VALU_DEP_4)
	v_cndmask_b32_e64 v51, v74, v58, s4
	v_cndmask_b32_e64 v50, v75, v54, s4
	v_cmp_eq_u32_e64 s4, 1, v10
	s_delay_alu instid0(VALU_DEP_2) | instskip(SKIP_1) | instid1(VALU_DEP_1)
	v_fma_f64 v[74:75], v[50:51], v[77:78], v[40:41]
	v_lshlrev_b32_e32 v4, 2, v10
	v_add3_u32 v4, 16, v4, 40
	scratch_load_b32 v4, v4, off
	v_cndmask_b32_e32 v24, v128, v73, vcc_lo
	v_cndmask_b32_e32 v23, v124, v72, vcc_lo
	v_cndmask_b32_e64 v104, v64, v72, s4
	v_cndmask_b32_e64 v64, v83, v73, s5
	;; [unrolled: 1-line block ×6, first 2 shown]
	v_mov_b32_e32 v110, v64
	v_cndmask_b32_e64 v77, v67, v69, s3
	v_cndmask_b32_e64 v76, v66, v68, s3
	;; [unrolled: 1-line block ×4, first 2 shown]
	v_mov_b32_e32 v109, v63
	v_dual_cndmask_b32 v175, v6, v70 :: v_dual_cndmask_b32 v176, v7, v71
	v_cndmask_b32_e64 v135, v16, v70, s2
	v_cndmask_b32_e64 v246, v87, v71, s3
	v_cndmask_b32_e64 v245, v84, v70, s3
	v_cndmask_b32_e64 v254, v88, v71, s4
	v_cndmask_b32_e64 v253, v85, v70, s4
	v_cndmask_b32_e64 v252, v89, v71, s5
	v_cndmask_b32_e32 v115, v90, v74, vcc_lo
	v_cndmask_b32_e32 v116, v94, v75, vcc_lo
	v_cndmask_b32_e64 v126, v80, v75, s2
	v_cndmask_b32_e64 v125, v79, v74, s2
	;; [unrolled: 1-line block ×6, first 2 shown]
	v_cmp_eq_u32_e64 s4, 5, v10
	v_cndmask_b32_e64 v251, v86, v70, s5
	v_cndmask_b32_e64 v249, v106, v75, s5
	;; [unrolled: 1-line block ×3, first 2 shown]
	s_waitcnt vmcnt(0)
	s_clause 0x8
	scratch_store_b32 off, v4, off offset:100
	scratch_store_b128 off, v[17:20], off offset:2032
	scratch_store_b128 off, v[21:24], off offset:2048
	;; [unrolled: 1-line block ×8, first 2 shown]
	v_cndmask_b32_e64 v32, v81, v73, s3
	v_cndmask_b32_e64 v31, v65, v72, s3
	;; [unrolled: 1-line block ×4, first 2 shown]
	s_clause 0x7
	scratch_store_b128 off, v[25:28], off offset:240
	scratch_store_b128 off, v[29:32], off offset:256
	;; [unrolled: 1-line block ×8, first 2 shown]
	v_dual_cndmask_b32 v34, v132, v69 :: v_dual_cndmask_b32 v33, v130, v68
	v_cmp_eq_u32_e32 vcc_lo, 8, v10
	v_cndmask_b32_e64 v136, v17, v71, s2
	v_cmp_eq_u32_e64 s2, 7, v10
	v_cmp_eq_u32_e64 s3, 6, v10
	s_clause 0x7
	scratch_store_b128 off, v[27:30], off offset:112
	scratch_store_b128 off, v[31:34], off offset:128
	;; [unrolled: 1-line block ×8, first 2 shown]
	v_cndmask_b32_e32 v17, v146, v73, vcc_lo
	v_cndmask_b32_e64 v34, v61, v69, s5
	v_cndmask_b32_e64 v33, v60, v68, s5
	s_movk_i32 s5, 0x1070
	s_delay_alu instid0(VALU_DEP_1)
	v_dual_mov_b32 v90, v34 :: v_dual_mov_b32 v89, v33
	v_dual_mov_b32 v101, v32 :: v_dual_mov_b32 v100, v31
	s_clause 0x7
	scratch_store_b128 off, v[0:3], off offset:1008
	scratch_store_b128 off, v[4:7], off offset:1024
	;; [unrolled: 1-line block ×8, first 2 shown]
	v_dual_cndmask_b32 v16, v140, v72 :: v_dual_cndmask_b32 v201, v54, v74
	v_cndmask_b32_e64 v223, v49, v74, s4
	s_clause 0x7
	scratch_store_b128 off, v[0:3], off offset:1904
	scratch_store_b128 off, v[4:7], off offset:1920
	scratch_store_b128 off, v[8:11], off offset:1936
	scratch_store_b128 off, v[12:15], off offset:1952
	scratch_store_b128 off, v[16:19], off offset:1968
	scratch_store_b128 off, v[20:23], off offset:1984
	scratch_store_b128 off, v[24:27], off offset:2000
	scratch_store_b128 off, v[28:31], off offset:2016
	v_cndmask_b32_e64 v15, v145, v73, s2
	s_clause 0x7
	scratch_store_b128 off, v[0:3], off offset:1136
	scratch_store_b128 off, v[4:7], off offset:1152
	scratch_store_b128 off, v[8:11], off offset:1168
	scratch_store_b128 off, v[12:15], off offset:1184
	scratch_store_b128 off, v[16:19], off offset:1200
	scratch_store_b128 off, v[20:23], off offset:1216
	scratch_store_b128 off, v[24:27], off offset:1232
	scratch_store_b128 off, v[28:31], off offset:1248
	;; [unrolled: 10-line block ×7, first 2 shown]
	v_cndmask_b32_e32 v17, v122, v69, vcc_lo
	s_clause 0x7
	scratch_store_b128 off, v[0:3], off offset:752
	scratch_store_b128 off, v[4:7], off offset:768
	;; [unrolled: 1-line block ×8, first 2 shown]
	v_cndmask_b32_e32 v16, v114, v68, vcc_lo
	s_clause 0x7
	scratch_store_b128 off, v[0:3], off offset:880
	scratch_store_b128 off, v[4:7], off offset:896
	scratch_store_b128 off, v[8:11], off offset:912
	scratch_store_b128 off, v[12:15], off offset:928
	scratch_store_b128 off, v[16:19], off offset:944
	scratch_store_b128 off, v[20:23], off offset:960
	scratch_store_b128 off, v[24:27], off offset:976
	scratch_store_b128 off, v[28:31], off offset:992
	v_cndmask_b32_e64 v15, v121, v69, s2
	s_clause 0x7
	scratch_store_b128 off, v[0:3], off offset:2160
	scratch_store_b128 off, v[4:7], off offset:2176
	scratch_store_b128 off, v[8:11], off offset:2192
	scratch_store_b128 off, v[12:15], off offset:2208
	scratch_store_b128 off, v[16:19], off offset:2224
	scratch_store_b128 off, v[20:23], off offset:2240
	scratch_store_b128 off, v[24:27], off offset:2256
	scratch_store_b128 off, v[28:31], off offset:2272
	v_cndmask_b32_e64 v14, v113, v68, s2
	;; [unrolled: 10-line block ×6, first 2 shown]
	s_clause 0x7
	scratch_store_b128 off, v[1:4], off offset:2800
	scratch_store_b128 off, v[5:8], off offset:2816
	scratch_store_b128 off, v[9:12], off offset:2832
	scratch_store_b128 off, v[13:16], off offset:2848
	scratch_store_b128 off, v[17:20], off offset:2864
	scratch_store_b128 off, v[21:24], off offset:2880
	scratch_store_b128 off, v[25:28], off offset:2896
	scratch_store_b128 off, v[29:32], off offset:2912
	v_cndmask_b32_e32 v18, v48, v71, vcc_lo
	s_clause 0x7
	scratch_store_b128 off, v[1:4], off offset:3440
	scratch_store_b128 off, v[5:8], off offset:3456
	;; [unrolled: 1-line block ×8, first 2 shown]
	v_cndmask_b32_e32 v16, v44, v70, vcc_lo
	s_clause 0x7
	scratch_store_b128 off, v[0:3], off offset:3952
	scratch_store_b128 off, v[4:7], off offset:3968
	scratch_store_b128 off, v[8:11], off offset:3984
	scratch_store_b128 off, v[12:15], off offset:4000
	scratch_store_b128 off, v[16:19], off offset:4016
	scratch_store_b128 off, v[20:23], off offset:4032
	scratch_store_b128 off, v[24:27], off offset:4048
	scratch_store_b128 off, v[28:31], off offset:4064
	v_cndmask_b32_e64 v15, v47, v71, s2
	s_clause 0x7
	scratch_store_b128 off, v[0:3], off offset:3568
	scratch_store_b128 off, v[4:7], off offset:3584
	scratch_store_b128 off, v[8:11], off offset:3600
	scratch_store_b128 off, v[12:15], off offset:3616
	scratch_store_b128 off, v[16:19], off offset:3632
	scratch_store_b128 off, v[20:23], off offset:3648
	scratch_store_b128 off, v[24:27], off offset:3664
	scratch_store_b128 off, v[28:31], off offset:3680
	v_cndmask_b32_e64 v14, v43, v70, s2
	;; [unrolled: 10-line block ×6, first 2 shown]
	s_clause 0x7
	scratch_store_b128 off, v[1:4], off offset:624
	scratch_store_b128 off, v[5:8], off offset:640
	;; [unrolled: 1-line block ×8, first 2 shown]
	v_cndmask_b32_e32 v17, v58, v75, vcc_lo
	s_clause 0x7
	scratch_store_b128 off, v[0:3], s5
	scratch_store_b128 off, v[4:7], s5 offset:16
	scratch_store_b128 off, v[8:11], s5 offset:32
	;; [unrolled: 1-line block ×7, first 2 shown]
	v_cndmask_b32_e64 v15, v57, v75, s2
	s_movk_i32 s5, 0xff0
	s_clause 0x7
	scratch_store_b128 off, v[0:3], s5
	scratch_store_b128 off, v[4:7], s5 offset:16
	scratch_store_b128 off, v[8:11], s5 offset:32
	;; [unrolled: 1-line block ×7, first 2 shown]
	v_cndmask_b32_e64 v14, v53, v74, s2
	s_clause 0x7
	scratch_store_b128 off, v[0:3], off offset:3184
	scratch_store_b128 off, v[4:7], off offset:3200
	scratch_store_b128 off, v[8:11], off offset:3216
	scratch_store_b128 off, v[12:15], off offset:3232
	scratch_store_b128 off, v[16:19], off offset:3248
	scratch_store_b128 off, v[20:23], off offset:3264
	scratch_store_b128 off, v[24:27], off offset:3280
	scratch_store_b128 off, v[28:31], off offset:3296
	v_cndmask_b32_e64 v13, v56, v75, s3
	s_clause 0x7
	scratch_store_b128 off, v[0:3], off offset:2928
	scratch_store_b128 off, v[4:7], off offset:2944
	scratch_store_b128 off, v[8:11], off offset:2960
	scratch_store_b128 off, v[12:15], off offset:2976
	scratch_store_b128 off, v[16:19], off offset:2992
	scratch_store_b128 off, v[20:23], off offset:3008
	scratch_store_b128 off, v[24:27], off offset:3024
	scratch_store_b128 off, v[28:31], off offset:3040
	v_cndmask_b32_e64 v12, v52, v74, s3
	s_clause 0x7
	scratch_store_b128 off, v[0:3], off offset:3312
	scratch_store_b128 off, v[4:7], off offset:3328
	scratch_store_b128 off, v[8:11], off offset:3344
	scratch_store_b128 off, v[12:15], off offset:3360
	scratch_store_b128 off, v[16:19], off offset:3376
	scratch_store_b128 off, v[20:23], off offset:3392
	scratch_store_b128 off, v[24:27], off offset:3408
	scratch_store_b128 off, v[28:31], off offset:3424
	v_cndmask_b32_e64 v11, v55, v75, s4
	s_clause 0x7
	scratch_store_b128 off, v[0:3], off offset:3056
	scratch_store_b128 off, v[4:7], off offset:3072
	scratch_store_b128 off, v[8:11], off offset:3088
	scratch_store_b128 off, v[12:15], off offset:3104
	scratch_store_b128 off, v[16:19], off offset:3120
	scratch_store_b128 off, v[20:23], off offset:3136
	scratch_store_b128 off, v[24:27], off offset:3152
	scratch_store_b128 off, v[28:31], off offset:3168
.LBB4_44:
	s_or_b32 exec_lo, exec_lo, s26
	s_mov_b32 s2, 0
	scratch_store_b32 off, v138, off offset:96
	s_mov_b32 s3, exec_lo
	s_clause 0x7
	scratch_load_b128 v[18:21], off, off offset:3440
	scratch_load_b128 v[22:25], off, off offset:3456
	;; [unrolled: 1-line block ×8, first 2 shown]
	s_and_b32 s0, s3, s0
	s_waitcnt vmcnt(3)
	v_mov_b32_e32 v96, v35
	s_mov_b32 exec_lo, s0
	s_cbranch_execz .LBB4_54
; %bb.45:
	v_cmp_gt_f64_e32 vcc_lo, 0, v[2:3]
	s_mov_b32 s4, 0
	s_branch .LBB4_47
.LBB4_46:                               ;   in Loop: Header=BB4_47 Depth=1
	s_or_b32 exec_lo, exec_lo, s0
	v_cmp_gt_i32_e64 s0, 0, v2
	v_mov_b32_e32 v133, v2
	s_delay_alu instid0(VALU_DEP_2) | instskip(NEXT) | instid1(SALU_CYCLE_1)
	s_or_b32 s4, s0, s4
	s_and_not1_b32 exec_lo, exec_lo, s4
	s_cbranch_execz .LBB4_53
.LBB4_47:                               ; =>This Inner Loop Header: Depth=1
	s_clause 0x7
	scratch_load_b128 v[18:21], off, off offset:112
	scratch_load_b128 v[22:25], off, off offset:128
	;; [unrolled: 1-line block ×8, first 2 shown]
	v_cmp_eq_u32_e64 s0, 1, v133
	v_cmp_eq_u32_e64 s2, 2, v133
	s_delay_alu instid0(VALU_DEP_2) | instskip(SKIP_2) | instid1(VALU_DEP_3)
	v_cndmask_b32_e64 v2, v90, v108, s0
	v_cndmask_b32_e64 v3, v89, v107, s0
	v_cmp_eq_u32_e64 s0, 3, v133
	v_cndmask_b32_e64 v2, v2, v77, s2
	s_delay_alu instid0(VALU_DEP_3)
	v_cndmask_b32_e64 v3, v3, v76, s2
	s_mov_b32 s2, 0
	s_waitcnt vmcnt(6)
	v_dual_mov_b32 v8, v24 :: v_dual_mov_b32 v9, v25
	s_clause 0x7
	scratch_load_b128 v[18:21], off, off offset:240
	scratch_load_b128 v[22:25], off, off offset:256
	;; [unrolled: 1-line block ×8, first 2 shown]
	v_cndmask_b32_e64 v3, v3, v8, s0
	v_cndmask_b32_e64 v2, v2, v9, s0
	v_cmp_eq_u32_e64 s0, 4, v133
	s_waitcnt vmcnt(5)
	v_dual_mov_b32 v8, v26 :: v_dual_mov_b32 v9, v27
	s_clause 0x7
	scratch_load_b128 v[11:14], off, off offset:2416
	scratch_load_b128 v[15:18], off, off offset:2432
	;; [unrolled: 1-line block ×8, first 2 shown]
	v_cndmask_b32_e64 v3, v3, v8, s0
	v_cndmask_b32_e64 v2, v2, v9, s0
	v_cmp_eq_u32_e64 s0, 5, v133
	s_waitcnt vmcnt(5)
	s_delay_alu instid0(VALU_DEP_1)
	v_cndmask_b32_e64 v2, v2, v22, s0
	s_clause 0x7
	scratch_load_b128 v[11:14], off, off offset:2800
	scratch_load_b128 v[15:18], off, off offset:2816
	scratch_load_b128 v[19:22], off, off offset:2832
	scratch_load_b128 v[23:26], off, off offset:2848
	scratch_load_b128 v[27:30], off, off offset:2864
	scratch_load_b128 v[31:34], off, off offset:2880
	scratch_load_b128 v[35:38], off, off offset:2896
	scratch_load_b128 v[39:42], off, off offset:2912
	s_waitcnt vmcnt(5)
	v_cndmask_b32_e64 v3, v3, v21, s0
	s_clause 0x7
	scratch_load_b128 v[11:14], off, off offset:2288
	scratch_load_b128 v[15:18], off, off offset:2304
	scratch_load_b128 v[19:22], off, off offset:2320
	scratch_load_b128 v[23:26], off, off offset:2336
	scratch_load_b128 v[27:30], off, off offset:2352
	scratch_load_b128 v[31:34], off, off offset:2368
	scratch_load_b128 v[35:38], off, off offset:2384
	scratch_load_b128 v[39:42], off, off offset:2400
	v_cmp_eq_u32_e64 s0, 6, v133
	s_waitcnt vmcnt(4)
	s_delay_alu instid0(VALU_DEP_1)
	v_cndmask_b32_e64 v2, v2, v24, s0
	s_clause 0x7
	scratch_load_b128 v[11:14], off, off offset:2672
	scratch_load_b128 v[15:18], off, off offset:2688
	scratch_load_b128 v[19:22], off, off offset:2704
	scratch_load_b128 v[23:26], off, off offset:2720
	scratch_load_b128 v[27:30], off, off offset:2736
	scratch_load_b128 v[31:34], off, off offset:2752
	scratch_load_b128 v[35:38], off, off offset:2768
	scratch_load_b128 v[39:42], off, off offset:2784
	s_waitcnt vmcnt(4)
	v_cndmask_b32_e64 v3, v3, v23, s0
	s_clause 0x7
	scratch_load_b128 v[11:14], off, off offset:2160
	scratch_load_b128 v[15:18], off, off offset:2176
	scratch_load_b128 v[19:22], off, off offset:2192
	scratch_load_b128 v[23:26], off, off offset:2208
	scratch_load_b128 v[27:30], off, off offset:2224
	scratch_load_b128 v[31:34], off, off offset:2240
	scratch_load_b128 v[35:38], off, off offset:2256
	scratch_load_b128 v[39:42], off, off offset:2272
	;; [unrolled: 24-line block ×3, first 2 shown]
	v_cmp_eq_u32_e64 s0, 8, v133
	s_waitcnt vmcnt(3)
	s_delay_alu instid0(VALU_DEP_1)
	v_cndmask_b32_e64 v3, v2, v28, s0
	s_clause 0x7
	scratch_load_b128 v[11:14], off, off offset:880
	scratch_load_b128 v[15:18], off, off offset:896
	;; [unrolled: 1-line block ×8, first 2 shown]
	s_waitcnt vmcnt(3)
	v_cndmask_b32_e64 v2, v4, v27, s0
	v_lshl_add_u32 v4, v133, 2, v99
	s_delay_alu instid0(VALU_DEP_2) | instskip(SKIP_2) | instid1(SALU_CYCLE_1)
	v_cmp_ngt_f64_e64 s0, 0, v[2:3]
	scratch_load_b32 v2, v4, off
                                        ; implicit-def: $vgpr3
	s_and_saveexec_b32 s5, s0
	s_xor_b32 s5, exec_lo, s5
	s_cbranch_execz .LBB4_49
; %bb.48:                               ;   in Loop: Header=BB4_47 Depth=1
	scratch_load_b32 v3, off, off offset:96
                                        ; implicit-def: $vgpr4
	s_waitcnt vmcnt(0)
	v_cmp_eq_u32_e64 s0, -1, v3
	v_mov_b32_e32 v3, 0x60
	s_delay_alu instid0(VALU_DEP_2)
	s_and_b32 s2, s0, exec_lo
.LBB4_49:                               ;   in Loop: Header=BB4_47 Depth=1
	s_and_not1_saveexec_b32 s0, s5
	s_cbranch_execz .LBB4_51
; %bb.50:                               ;   in Loop: Header=BB4_47 Depth=1
	scratch_load_b32 v8, off, off offset:100
	v_mov_b32_e32 v3, 0x64
	s_or_b32 s2, s2, exec_lo
	s_waitcnt vmcnt(0)
	scratch_store_b32 v4, v8, off
.LBB4_51:                               ;   in Loop: Header=BB4_47 Depth=1
	s_or_b32 exec_lo, exec_lo, s0
	s_delay_alu instid0(SALU_CYCLE_1)
	s_mov_b32 s0, exec_lo
	s_clause 0x7
	scratch_load_b128 v[18:21], off, off offset:3440
	scratch_load_b128 v[22:25], off, off offset:3456
	;; [unrolled: 1-line block ×8, first 2 shown]
	s_and_b32 s2, s0, s2
	s_waitcnt vmcnt(3)
	v_mov_b32_e32 v96, v35
	s_mov_b32 exec_lo, s2
	s_cbranch_execz .LBB4_46
; %bb.52:                               ;   in Loop: Header=BB4_47 Depth=1
	scratch_store_b32 v3, v133, off
	s_branch .LBB4_46
.LBB4_53:
	s_or_b32 exec_lo, exec_lo, s4
	s_delay_alu instid0(SALU_CYCLE_1)
	s_and_b32 s2, vcc_lo, exec_lo
.LBB4_54:
	s_or_b32 exec_lo, exec_lo, s3
	s_and_saveexec_b32 s0, s1
; %bb.55:
	v_cmp_gt_f64_e32 vcc_lo, 0, v[0:1]
	v_lshlrev_b32_e32 v0, 2, v134
	v_lshlrev_b32_e32 v1, 2, v5
	;; [unrolled: 1-line block ×3, first 2 shown]
	s_delay_alu instid0(VALU_DEP_3) | instskip(NEXT) | instid1(VALU_DEP_3)
	v_add3_u32 v0, 16, v0, 40
	v_add3_u32 v1, 16, v1, 40
	s_delay_alu instid0(VALU_DEP_3) | instskip(SKIP_1) | instid1(SALU_CYCLE_1)
	v_add3_u32 v2, 16, v2, 40
	s_or_b32 s1, vcc_lo, s2
	v_cndmask_b32_e64 v3, v137, -1, s1
	s_clause 0x2
	scratch_store_b32 v0, v5, off
	scratch_store_b32 v1, v10, off
	scratch_store_b32 v2, v3, off
; %bb.56:
	s_or_b32 exec_lo, exec_lo, s0
	s_clause 0x8
	scratch_load_b32 v163, off, off offset:96
	scratch_load_b128 v[12:15], off, off offset:3824
	scratch_load_b128 v[16:19], off, off offset:3840
	;; [unrolled: 1-line block ×8, first 2 shown]
	v_mov_b32_e32 v102, -1
	v_dual_mov_b32 v103, -1 :: v_dual_mov_b32 v168, 0
	s_delay_alu instid0(VALU_DEP_2) | instskip(NEXT) | instid1(VALU_DEP_2)
	v_dual_mov_b32 v169, 0 :: v_dual_mov_b32 v8, v102
	v_dual_mov_b32 v172, -1 :: v_dual_mov_b32 v9, v103
	v_mov_b32_e32 v173, -1
	s_waitcnt vmcnt(8)
	v_cmp_eq_u32_e32 vcc_lo, 1, v163
	v_cmp_eq_u32_e64 s0, 2, v163
	v_dual_cndmask_b32 v0, v252, v254 :: v_dual_cndmask_b32 v1, v251, v253
	v_cmp_eq_u32_e32 vcc_lo, 3, v163
	s_delay_alu instid0(VALU_DEP_2) | instskip(NEXT) | instid1(VALU_DEP_3)
	v_cndmask_b32_e64 v0, v0, v246, s0
	v_cndmask_b32_e64 v1, v1, v245, s0
	v_cmp_lt_i32_e64 s0, -1, v163
	s_delay_alu instid0(VALU_DEP_2) | instskip(SKIP_1) | instid1(VALU_DEP_2)
	v_dual_cndmask_b32 v0, v0, v176 :: v_dual_cndmask_b32 v1, v1, v175
	v_cmp_eq_u32_e32 vcc_lo, 4, v163
	v_dual_cndmask_b32 v0, v0, v136 :: v_dual_cndmask_b32 v1, v1, v135
	v_cmp_eq_u32_e32 vcc_lo, 5, v163
	s_waitcnt vmcnt(5)
	s_delay_alu instid0(VALU_DEP_2)
	v_cndmask_b32_e32 v0, v0, v23, vcc_lo
	s_clause 0x7
	scratch_load_b128 v[12:15], off, off offset:624
	scratch_load_b128 v[16:19], off, off offset:640
	;; [unrolled: 1-line block ×8, first 2 shown]
	s_waitcnt vmcnt(5)
	v_cndmask_b32_e32 v1, v1, v22, vcc_lo
	s_clause 0x7
	scratch_load_b128 v[12:15], off, off offset:3696
	scratch_load_b128 v[16:19], off, off offset:3712
	scratch_load_b128 v[20:23], off, off offset:3728
	scratch_load_b128 v[24:27], off, off offset:3744
	scratch_load_b128 v[28:31], off, off offset:3760
	scratch_load_b128 v[32:35], off, off offset:3776
	scratch_load_b128 v[36:39], off, off offset:3792
	scratch_load_b128 v[40:43], off, off offset:3808
	v_cmp_eq_u32_e32 vcc_lo, 6, v163
	s_waitcnt vmcnt(4)
	v_cndmask_b32_e32 v0, v0, v25, vcc_lo
	s_clause 0x7
	scratch_load_b128 v[12:15], off, off offset:496
	scratch_load_b128 v[16:19], off, off offset:512
	;; [unrolled: 1-line block ×8, first 2 shown]
	s_waitcnt vmcnt(4)
	v_cndmask_b32_e32 v1, v1, v24, vcc_lo
	s_clause 0x7
	scratch_load_b128 v[18:21], off, off offset:3568
	scratch_load_b128 v[22:25], off, off offset:3584
	;; [unrolled: 1-line block ×8, first 2 shown]
	v_cmp_eq_u32_e32 vcc_lo, 7, v163
	s_waitcnt vmcnt(4)
	v_cndmask_b32_e32 v0, v0, v33, vcc_lo
	s_clause 0x7
	scratch_load_b128 v[12:15], off, off offset:368
	scratch_load_b128 v[16:19], off, off offset:384
	;; [unrolled: 1-line block ×8, first 2 shown]
	s_waitcnt vmcnt(4)
	v_cndmask_b32_e32 v1, v1, v26, vcc_lo
	s_clause 0x7
	scratch_load_b128 v[12:15], off, off offset:3952
	scratch_load_b128 v[16:19], off, off offset:3968
	;; [unrolled: 1-line block ×8, first 2 shown]
	v_cmp_eq_u32_e32 vcc_lo, 8, v163
	v_cndmask_b32_e32 v171, v0, v96, vcc_lo
	s_waitcnt vmcnt(3)
	v_cndmask_b32_e32 v170, v1, v28, vcc_lo
	s_and_saveexec_b32 s5, s0
	s_cbranch_execz .LBB4_60
; %bb.57:
	s_clause 0x7
	scratch_load_b128 v[14:17], off, off offset:3568
	scratch_load_b128 v[18:21], off, off offset:3584
	;; [unrolled: 1-line block ×8, first 2 shown]
	v_dual_mov_b32 v8, -1 :: v_dual_mov_b32 v9, v170
	v_dual_mov_b32 v172, -1 :: v_dual_mov_b32 v5, v163
	v_dual_mov_b32 v102, -1 :: v_dual_mov_b32 v173, -1
	s_mov_b32 s6, 0
	s_waitcnt vmcnt(4)
	v_mov_b32_e32 v20, v29
	s_clause 0x7
	scratch_load_b128 v[21:24], off, off offset:3696
	scratch_load_b128 v[25:28], off, off offset:3712
	;; [unrolled: 1-line block ×8, first 2 shown]
	s_waitcnt vmcnt(4)
	v_mov_b32_e32 v16, v34
	s_clause 0x7
	scratch_load_b128 v[21:24], off, off offset:3824
	scratch_load_b128 v[25:28], off, off offset:3840
	scratch_load_b128 v[29:32], off, off offset:3856
	scratch_load_b128 v[33:36], off, off offset:3872
	scratch_load_b128 v[37:40], off, off offset:3888
	scratch_load_b128 v[41:44], off, off offset:3904
	scratch_load_b128 v[45:48], off, off offset:3920
	scratch_load_b128 v[49:52], off, off offset:3936
	s_waitcnt vmcnt(5)
	v_dual_mov_b32 v10, v171 :: v_dual_mov_b32 v17, v32
	s_clause 0x7
	scratch_load_b128 v[21:24], off, off offset:3952
	scratch_load_b128 v[25:28], off, off offset:3968
	scratch_load_b128 v[29:32], off, off offset:3984
	scratch_load_b128 v[33:36], off, off offset:4000
	scratch_load_b128 v[37:40], off, off offset:4016
	scratch_load_b128 v[41:44], off, off offset:4032
	scratch_load_b128 v[45:48], off, off offset:4048
	scratch_load_b128 v[49:52], off, off offset:4064
	s_waitcnt vmcnt(3)
	v_mov_b32_e32 v21, v37
	s_clause 0x7
	scratch_load_b128 v[22:25], off, off offset:368
	scratch_load_b128 v[26:29], off, off offset:384
	scratch_load_b128 v[30:33], off, off offset:400
	scratch_load_b128 v[34:37], off, off offset:416
	scratch_load_b128 v[38:41], off, off offset:432
	scratch_load_b128 v[42:45], off, off offset:448
	scratch_load_b128 v[46:49], off, off offset:464
	scratch_load_b128 v[50:53], off, off offset:480
	s_waitcnt vmcnt(4)
	v_mov_b32_e32 v22, v36
	;; [unrolled: 11-line block ×4, first 2 shown]
.LBB4_58:                               ; =>This Inner Loop Header: Depth=1
	s_delay_alu instid0(VALU_DEP_1)
	v_lshl_add_u32 v0, v5, 2, v99
	v_dual_mov_b32 v169, v10 :: v_dual_mov_b32 v168, v9
	scratch_load_b32 v18, v0, off
	s_waitcnt vmcnt(0)
	v_cmp_gt_i32_e32 vcc_lo, 0, v18
	v_cndmask_b32_e32 v19, v18, v163, vcc_lo
	s_delay_alu instid0(VALU_DEP_1) | instskip(SKIP_1) | instid1(VALU_DEP_2)
	v_cmp_eq_u32_e64 s1, 1, v19
	v_cmp_eq_u32_e64 s2, 2, v19
	v_cndmask_b32_e64 v0, v252, v254, s1
	v_cndmask_b32_e64 v1, v251, v253, s1
	v_cmp_eq_u32_e64 s1, 3, v19
	s_delay_alu instid0(VALU_DEP_3) | instskip(NEXT) | instid1(VALU_DEP_3)
	v_cndmask_b32_e64 v0, v0, v246, s2
	v_cndmask_b32_e64 v1, v1, v245, s2
	s_delay_alu instid0(VALU_DEP_2) | instskip(NEXT) | instid1(VALU_DEP_2)
	v_cndmask_b32_e64 v0, v0, v176, s1
	v_cndmask_b32_e64 v1, v1, v175, s1
	v_cmp_eq_u32_e64 s1, 4, v19
	s_delay_alu instid0(VALU_DEP_1) | instskip(NEXT) | instid1(VALU_DEP_3)
	v_cndmask_b32_e64 v0, v0, v136, s1
	v_cndmask_b32_e64 v1, v1, v135, s1
	v_cmp_eq_u32_e64 s1, 5, v19
	s_delay_alu instid0(VALU_DEP_1) | instskip(NEXT) | instid1(VALU_DEP_3)
	;; [unrolled: 4-line block ×4, first 2 shown]
	v_cndmask_b32_e64 v0, v0, v20, s1
	v_cndmask_b32_e64 v1, v1, v22, s1
	v_cmp_eq_u32_e64 s1, 8, v19
	s_delay_alu instid0(VALU_DEP_1) | instskip(NEXT) | instid1(VALU_DEP_4)
	v_cndmask_b32_e64 v14, v1, v21, s1
	v_cndmask_b32_e64 v15, v0, v96, s1
	s_delay_alu instid0(VALU_DEP_2) | instskip(NEXT) | instid1(VALU_DEP_2)
	v_mov_b32_e32 v9, v14
	v_cmp_gt_f64_e64 s2, 0, v[14:15]
	v_cmp_le_f64_e64 s4, 0, v[14:15]
	v_mov_b32_e32 v10, v15
	v_cmp_le_f64_e64 s1, 0, v[168:169]
	v_cmp_gt_f64_e64 s3, 0, v[168:169]
	s_delay_alu instid0(VALU_DEP_2) | instskip(NEXT) | instid1(VALU_DEP_1)
	s_and_b32 s1, s1, s2
	s_and_b32 s2, s3, s4
	v_cndmask_b32_e64 v8, v8, v19, s1
	v_cndmask_b32_e64 v173, v173, v19, s2
	;; [unrolled: 1-line block ×4, first 2 shown]
	v_mov_b32_e32 v5, v18
	s_or_b32 s6, vcc_lo, s6
	s_delay_alu instid0(SALU_CYCLE_1)
	s_and_not1_b32 exec_lo, exec_lo, s6
	s_cbranch_execnz .LBB4_58
; %bb.59:
	s_or_b32 exec_lo, exec_lo, s6
.LBB4_60:
	s_delay_alu instid0(SALU_CYCLE_1)
	s_or_b32 exec_lo, exec_lo, s5
	v_dual_mov_b32 v118, v90 :: v_dual_mov_b32 v117, v89
	v_dual_mov_b32 v112, v77 :: v_dual_mov_b32 v111, v76
	v_cmp_lt_i32_e64 s1, -1, v172
	v_dual_mov_b32 v177, -1 :: v_dual_mov_b32 v174, -1
	v_mov_b32_e32 v10, -1
	s_delay_alu instid0(VALU_DEP_3)
	s_and_saveexec_b32 s26, s1
	s_cbranch_execz .LBB4_62
; %bb.61:
	s_clause 0x7
	scratch_load_b128 v[14:17], off, off offset:3824
	scratch_load_b128 v[18:21], off, off offset:3840
	;; [unrolled: 1-line block ×8, first 2 shown]
	v_cmp_eq_u32_e64 s2, 1, v8
	v_cmp_eq_u32_e64 s3, 2, v8
	;; [unrolled: 1-line block ×5, first 2 shown]
	v_cndmask_b32_e64 v5, v252, v254, s2
	v_cmp_eq_u32_e64 s7, 6, v8
	v_cmp_eq_u32_e64 s8, 7, v8
	v_cmp_eq_u32_e64 s9, 8, v8
	v_cndmask_b32_e64 v8, v251, v253, s2
	v_cndmask_b32_e64 v5, v5, v246, s3
	v_cmp_eq_u32_e64 s10, 1, v172
	v_cmp_eq_u32_e64 s11, 2, v172
	v_cmp_eq_u32_e64 s12, 3, v172
	v_cndmask_b32_e64 v8, v8, v245, s3
	;; [unrolled: 5-line block ×3, first 2 shown]
	v_cndmask_b32_e64 v5, v5, v136, s5
	v_cmp_eq_u32_e64 s16, 7, v172
	v_cmp_eq_u32_e64 s19, 8, v172
	v_dual_mov_b32 v82, v100 :: v_dual_mov_b32 v83, v101
	v_cndmask_b32_e64 v8, v8, v135, s5
	v_mov_b32_e32 v92, v111
	v_dual_mov_b32 v94, v117 :: v_dual_mov_b32 v93, v112
	v_mov_b32_e32 v95, v118
	s_waitcnt vmcnt(5)
	v_mov_b32_e32 v81, v25
	s_clause 0x7
	scratch_load_b128 v[14:17], off, off offset:3696
	scratch_load_b128 v[18:21], off, off offset:3712
	scratch_load_b128 v[22:25], off, off offset:3728
	scratch_load_b128 v[26:29], off, off offset:3744
	scratch_load_b128 v[30:33], off, off offset:3760
	scratch_load_b128 v[34:37], off, off offset:3776
	scratch_load_b128 v[38:41], off, off offset:3792
	scratch_load_b128 v[42:45], off, off offset:3808
	s_waitcnt vmcnt(4)
	v_mov_b32_e32 v87, v27
	s_clause 0x7
	scratch_load_b128 v[18:21], off, off offset:3568
	scratch_load_b128 v[22:25], off, off offset:3584
	scratch_load_b128 v[26:29], off, off offset:3600
	scratch_load_b128 v[30:33], off, off offset:3616
	scratch_load_b128 v[34:37], off, off offset:3632
	scratch_load_b128 v[38:41], off, off offset:3648
	scratch_load_b128 v[42:45], off, off offset:3664
	scratch_load_b128 v[46:49], off, off offset:3680
	;; [unrolled: 11-line block ×4, first 2 shown]
	v_cndmask_b32_e64 v5, v5, v81, s6
	v_cndmask_b32_e64 v8, v8, v86, s6
	s_delay_alu instid0(VALU_DEP_2) | instskip(NEXT) | instid1(VALU_DEP_1)
	v_cndmask_b32_e64 v5, v5, v87, s7
	v_cndmask_b32_e64 v5, v5, v80, s8
	s_delay_alu instid0(VALU_DEP_1) | instskip(SKIP_1) | instid1(VALU_DEP_1)
	v_cndmask_b32_e64 v73, v5, v96, s9
	v_cndmask_b32_e64 v5, v252, v254, s10
	;; [unrolled: 1-line block ×3, first 2 shown]
	s_delay_alu instid0(VALU_DEP_1) | instskip(NEXT) | instid1(VALU_DEP_1)
	v_cndmask_b32_e64 v5, v5, v176, s12
	v_cndmask_b32_e64 v5, v5, v136, s13
	s_delay_alu instid0(VALU_DEP_1) | instskip(NEXT) | instid1(VALU_DEP_1)
	v_cndmask_b32_e64 v5, v5, v81, s14
	v_cndmask_b32_e64 v5, v5, v87, s15
	;; [unrolled: 3-line block ×3, first 2 shown]
	v_cndmask_b32_e64 v5, v110, v105, s10
	s_delay_alu instid0(VALU_DEP_1)
	v_cndmask_b32_e64 v5, v5, v83, s11
	s_waitcnt vmcnt(4)
	v_mov_b32_e32 v85, v29
	s_clause 0x7
	scratch_load_b128 v[17:20], off, off offset:368
	scratch_load_b128 v[21:24], off, off offset:384
	;; [unrolled: 1-line block ×8, first 2 shown]
	s_waitcnt vmcnt(4)
	v_mov_b32_e32 v84, v31
	s_clause 0x7
	scratch_load_b128 v[17:20], off, off offset:3952
	scratch_load_b128 v[21:24], off, off offset:3968
	;; [unrolled: 1-line block ×8, first 2 shown]
	v_cndmask_b32_e64 v8, v8, v85, s7
	s_delay_alu instid0(VALU_DEP_1) | instskip(SKIP_2) | instid1(VALU_DEP_1)
	v_cndmask_b32_e64 v8, v8, v84, s8
	s_waitcnt vmcnt(3)
	v_mov_b32_e32 v88, v33
	v_cndmask_b32_e64 v72, v8, v88, s9
	v_cndmask_b32_e64 v8, v251, v253, s10
	s_delay_alu instid0(VALU_DEP_2) | instskip(NEXT) | instid1(VALU_DEP_2)
	v_add_f64 v[14:15], -v[72:73], 0
	v_cndmask_b32_e64 v8, v8, v245, s11
	s_delay_alu instid0(VALU_DEP_1) | instskip(NEXT) | instid1(VALU_DEP_1)
	v_cndmask_b32_e64 v8, v8, v175, s12
	v_cndmask_b32_e64 v8, v8, v135, s13
	s_delay_alu instid0(VALU_DEP_1) | instskip(NEXT) | instid1(VALU_DEP_1)
	v_cndmask_b32_e64 v8, v8, v86, s14
	;; [unrolled: 3-line block ×3, first 2 shown]
	v_cndmask_b32_e64 v74, v8, v88, s19
	v_cndmask_b32_e64 v8, v109, v104, s10
	s_delay_alu instid0(VALU_DEP_2) | instskip(NEXT) | instid1(VALU_DEP_2)
	v_add_f64 v[18:19], v[74:75], -v[72:73]
	v_cndmask_b32_e64 v8, v8, v82, s11
	s_delay_alu instid0(VALU_DEP_2) | instskip(NEXT) | instid1(VALU_DEP_1)
	v_div_scale_f64 v[20:21], null, v[18:19], v[18:19], v[14:15]
	v_rcp_f64_e32 v[22:23], v[20:21]
	s_waitcnt_depctr 0xfff
	v_fma_f64 v[24:25], -v[20:21], v[22:23], 1.0
	s_delay_alu instid0(VALU_DEP_1) | instskip(NEXT) | instid1(VALU_DEP_1)
	v_fma_f64 v[22:23], v[22:23], v[24:25], v[22:23]
	v_fma_f64 v[24:25], -v[20:21], v[22:23], 1.0
	s_delay_alu instid0(VALU_DEP_1) | instskip(SKIP_1) | instid1(VALU_DEP_1)
	v_fma_f64 v[22:23], v[22:23], v[24:25], v[22:23]
	v_div_scale_f64 v[24:25], vcc_lo, v[14:15], v[18:19], v[14:15]
	v_mul_f64 v[26:27], v[24:25], v[22:23]
	s_delay_alu instid0(VALU_DEP_1) | instskip(NEXT) | instid1(VALU_DEP_1)
	v_fma_f64 v[20:21], -v[20:21], v[26:27], v[24:25]
	v_div_fmas_f64 v[20:21], v[20:21], v[22:23], v[26:27]
	s_delay_alu instid0(VALU_DEP_1)
	v_div_fixup_f64 v[76:77], v[20:21], v[18:19], v[14:15]
	s_clause 0xf
	scratch_load_b128 v[20:23], off, off offset:2032
	scratch_load_b128 v[24:27], off, off offset:2048
	;; [unrolled: 1-line block ×16, first 2 shown]
	v_add_f64 v[78:79], -v[76:77], 1.0
	s_waitcnt vmcnt(14)
	v_cndmask_b32_e64 v5, v5, v27, s12
	s_waitcnt vmcnt(5)
	v_mov_b32_e32 v11, v39
	s_clause 0x7
	scratch_load_b128 v[28:31], off, off offset:1520
	scratch_load_b128 v[32:35], off, off offset:1536
	;; [unrolled: 1-line block ×8, first 2 shown]
	v_cndmask_b32_e64 v8, v8, v26, s12
	v_cndmask_b32_e64 v5, v5, v151, s13
	s_delay_alu instid0(VALU_DEP_2) | instskip(NEXT) | instid1(VALU_DEP_2)
	v_cndmask_b32_e64 v8, v8, v150, s13
	v_cndmask_b32_e64 v5, v5, v11, s14
	s_waitcnt vmcnt(5)
	v_mov_b32_e32 v10, v38
	s_clause 0x7
	scratch_load_b128 v[28:31], off, off offset:1264
	scratch_load_b128 v[32:35], off, off offset:1280
	;; [unrolled: 1-line block ×8, first 2 shown]
	s_waitcnt vmcnt(4)
	v_mov_b32_e32 v13, v41
	s_clause 0x7
	scratch_load_b128 v[28:31], off, off offset:1648
	scratch_load_b128 v[32:35], off, off offset:1664
	;; [unrolled: 1-line block ×8, first 2 shown]
	v_cndmask_b32_e64 v8, v8, v10, s14
	v_cndmask_b32_e64 v5, v5, v13, s15
	s_waitcnt vmcnt(4)
	v_mov_b32_e32 v12, v40
	s_clause 0x7
	scratch_load_b128 v[28:31], off, off offset:1136
	scratch_load_b128 v[32:35], off, off offset:1152
	scratch_load_b128 v[36:39], off, off offset:1168
	scratch_load_b128 v[40:43], off, off offset:1184
	scratch_load_b128 v[44:47], off, off offset:1200
	scratch_load_b128 v[48:51], off, off offset:1216
	scratch_load_b128 v[52:55], off, off offset:1232
	scratch_load_b128 v[56:59], off, off offset:1248
	s_waitcnt vmcnt(4)
	v_mov_b32_e32 v16, v43
	s_clause 0x7
	scratch_load_b128 v[28:31], off, off offset:1776
	scratch_load_b128 v[32:35], off, off offset:1792
	scratch_load_b128 v[36:39], off, off offset:1808
	scratch_load_b128 v[40:43], off, off offset:1824
	scratch_load_b128 v[44:47], off, off offset:1840
	scratch_load_b128 v[48:51], off, off offset:1856
	scratch_load_b128 v[52:55], off, off offset:1872
	scratch_load_b128 v[56:59], off, off offset:1888
	;; [unrolled: 11-line block ×4, first 2 shown]
	scratch_load_b32 v174, off, off offset:100
	v_cndmask_b32_e64 v8, v8, v12, s15
	s_delay_alu instid0(VALU_DEP_1)
	v_cndmask_b32_e64 v8, v8, v20, s16
	s_waitcnt vmcnt(4)
	v_mov_b32_e32 v21, v44
	s_clause 0x7
	scratch_load_b128 v[36:39], off, off offset:112
	scratch_load_b128 v[40:43], off, off offset:128
	;; [unrolled: 1-line block ×8, first 2 shown]
	v_cndmask_b32_e64 v5, v5, v16, s16
	s_waitcnt vmcnt(8)
	v_cmp_eq_u32_e64 s17, 3, v174
	v_cmp_eq_u32_e32 vcc_lo, 8, v174
	v_cndmask_b32_e64 v14, v8, v21, s19
	v_cndmask_b32_e64 v8, v109, v104, s2
	;; [unrolled: 1-line block ×4, first 2 shown]
	v_cmp_eq_u32_e64 s20, 7, v174
	v_cmp_eq_u32_e64 s22, 5, v174
	v_cndmask_b32_e64 v8, v8, v82, s3
	v_cmp_eq_u32_e64 s21, 6, v174
	v_cndmask_b32_e64 v5, v5, v83, s3
	v_cmp_eq_u32_e64 s18, 4, v174
	s_delay_alu instid0(VALU_DEP_4) | instskip(NEXT) | instid1(VALU_DEP_3)
	v_cndmask_b32_e64 v8, v8, v26, s4
	v_cndmask_b32_e64 v5, v5, v27, s4
	s_delay_alu instid0(VALU_DEP_2) | instskip(NEXT) | instid1(VALU_DEP_2)
	v_cndmask_b32_e64 v8, v8, v150, s5
	v_cndmask_b32_e64 v5, v5, v151, s5
	s_delay_alu instid0(VALU_DEP_2) | instskip(NEXT) | instid1(VALU_DEP_2)
	v_cndmask_b32_e64 v8, v8, v10, s6
	v_cndmask_b32_e64 v5, v5, v11, s6
	s_delay_alu instid0(VALU_DEP_2) | instskip(NEXT) | instid1(VALU_DEP_2)
	v_cndmask_b32_e64 v8, v8, v12, s7
	v_cndmask_b32_e64 v5, v5, v13, s7
	s_delay_alu instid0(VALU_DEP_2) | instskip(NEXT) | instid1(VALU_DEP_2)
	v_cndmask_b32_e64 v8, v8, v20, s8
	v_cndmask_b32_e64 v5, v5, v16, s8
	s_delay_alu instid0(VALU_DEP_2) | instskip(NEXT) | instid1(VALU_DEP_2)
	v_cndmask_b32_e64 v18, v8, v21, s9
	v_cndmask_b32_e64 v19, v5, v17, s9
	s_delay_alu instid0(VALU_DEP_1) | instskip(NEXT) | instid1(VALU_DEP_1)
	v_mul_f64 v[18:19], v[18:19], v[78:79]
	v_fma_f64 v[68:69], v[14:15], v[76:77], v[18:19]
	s_delay_alu instid0(VALU_DEP_1) | instskip(SKIP_2) | instid1(VALU_DEP_4)
	v_cndmask_b32_e64 v130, v27, v69, s17
	v_cndmask_b32_e64 v27, v94, v107, s2
	v_cndmask_b32_e32 v124, v17, v69, vcc_lo
	v_cndmask_b32_e32 v178, v21, v68, vcc_lo
	v_cndmask_b32_e64 v98, v20, v68, s20
	v_cndmask_b32_e64 v123, v16, v69, s20
	v_cndmask_b32_e64 v27, v27, v92, s3
	v_cndmask_b32_e64 v128, v26, v68, s17
	v_cndmask_b32_e64 v114, v10, v68, s22
	v_cndmask_b32_e64 v10, v95, v108, s2
	v_cndmask_b32_e64 v113, v12, v68, s21
	v_cndmask_b32_e64 v122, v13, v69, s21
	v_cndmask_b32_e64 v121, v11, v69, s22
	v_cndmask_b32_e64 v127, v150, v68, s18
	v_cndmask_b32_e64 v10, v10, v93, s3
	v_cndmask_b32_e64 v129, v151, v69, s18
	s_waitcnt vmcnt(0)
	v_dual_mov_b32 v66, v43 :: v_dual_mov_b32 v65, v42
	s_delay_alu instid0(VALU_DEP_1)
	v_cndmask_b32_e64 v61, v27, v65, s4
	s_clause 0x7
	scratch_load_b128 v[27:30], off, off offset:240
	scratch_load_b128 v[31:34], off, off offset:256
	;; [unrolled: 1-line block ×8, first 2 shown]
	s_waitcnt vmcnt(5)
	v_dual_mov_b32 v90, v36 :: v_dual_mov_b32 v89, v35
	s_clause 0x7
	scratch_load_b128 v[28:31], off, off offset:2416
	scratch_load_b128 v[32:35], off, off offset:2432
	;; [unrolled: 1-line block ×8, first 2 shown]
	v_cndmask_b32_e64 v27, v61, v89, s5
	s_waitcnt vmcnt(5)
	v_mov_b32_e32 v91, v39
	s_clause 0x7
	scratch_load_b128 v[28:31], off, off offset:2800
	scratch_load_b128 v[32:35], off, off offset:2816
	;; [unrolled: 1-line block ×8, first 2 shown]
	s_waitcnt vmcnt(5)
	v_mov_b32_e32 v101, v38
	s_clause 0x7
	scratch_load_b128 v[28:31], off, off offset:2288
	scratch_load_b128 v[32:35], off, off offset:2304
	;; [unrolled: 1-line block ×8, first 2 shown]
	v_cndmask_b32_e64 v27, v27, v101, s6
	s_waitcnt vmcnt(4)
	v_mov_b32_e32 v67, v41
	s_clause 0x7
	scratch_load_b128 v[28:31], off, off offset:2672
	scratch_load_b128 v[32:35], off, off offset:2688
	;; [unrolled: 1-line block ×8, first 2 shown]
	v_cndmask_b32_e64 v10, v10, v66, s4
	s_delay_alu instid0(VALU_DEP_1) | instskip(NEXT) | instid1(VALU_DEP_1)
	v_cndmask_b32_e64 v10, v10, v90, s5
	v_cndmask_b32_e64 v10, v10, v91, s6
	s_delay_alu instid0(VALU_DEP_1)
	v_cndmask_b32_e64 v10, v10, v67, s7
	s_waitcnt vmcnt(4)
	v_mov_b32_e32 v100, v40
	s_clause 0x7
	scratch_load_b128 v[33:36], off, off offset:2160
	scratch_load_b128 v[37:40], off, off offset:2176
	;; [unrolled: 1-line block ×8, first 2 shown]
	v_cndmask_b32_e64 v27, v27, v100, s7
	s_waitcnt vmcnt(4)
	v_mov_b32_e32 v99, v48
	s_clause 0x7
	scratch_load_b128 v[33:36], off, off offset:2544
	scratch_load_b128 v[37:40], off, off offset:2560
	;; [unrolled: 1-line block ×8, first 2 shown]
	s_waitcnt vmcnt(3)
	v_cndmask_b32_e64 v49, v248, v166, s2
	s_delay_alu instid0(VALU_DEP_1) | instskip(NEXT) | instid1(VALU_DEP_1)
	v_cndmask_b32_e64 v49, v49, v164, s3
	v_cndmask_b32_e64 v49, v49, v115, s4
	s_delay_alu instid0(VALU_DEP_1) | instskip(NEXT) | instid1(VALU_DEP_1)
	v_cndmask_b32_e64 v49, v49, v125, s5
	v_cndmask_b32_e64 v49, v49, v223, s6
	;; [unrolled: 1-line block ×3, first 2 shown]
	s_clause 0x7
	scratch_load_b128 v[14:17], off, off offset:752
	scratch_load_b128 v[18:21], off, off offset:768
	;; [unrolled: 1-line block ×8, first 2 shown]
	s_waitcnt vmcnt(2)
	v_mul_f64 v[35:36], v[72:73], v[78:79]
	s_delay_alu instid0(VALU_DEP_1) | instskip(NEXT) | instid1(VALU_DEP_1)
	v_fma_f64 v[72:73], v[74:75], v[76:77], v[35:36]
	v_cndmask_b32_e64 v37, v84, v72, s20
	v_cndmask_b32_e64 v36, v85, v72, s21
	s_waitcnt vmcnt(0)
	s_delay_alu instid0(VALU_DEP_3)
	v_cndmask_b32_e64 v43, v80, v73, s20
	v_cndmask_b32_e64 v42, v87, v73, s21
	;; [unrolled: 1-line block ×4, first 2 shown]
	v_cndmask_b32_e32 v38, v88, v72, vcc_lo
	v_cndmask_b32_e32 v44, v96, v73, vcc_lo
	v_mov_b32_e32 v32, v31
	v_cndmask_b32_e64 v10, v10, v99, s8
	s_delay_alu instid0(VALU_DEP_1)
	v_cndmask_b32_e64 v34, v10, v32, s9
	s_clause 0x7
	scratch_load_b128 v[0:3], off, off offset:880
	scratch_load_b128 v[4:7], off, off offset:896
	;; [unrolled: 1-line block ×8, first 2 shown]
	s_waitcnt vmcnt(5)
	v_cndmask_b32_e64 v10, v95, v108, s10
	s_waitcnt vmcnt(0)
	v_cndmask_b32_e64 v29, v94, v107, s10
	v_cndmask_b32_e64 v17, v136, v73, s18
	;; [unrolled: 1-line block ×6, first 2 shown]
	s_delay_alu instid0(VALU_DEP_2) | instskip(NEXT) | instid1(VALU_DEP_2)
	v_cndmask_b32_e64 v10, v10, v66, s12
	v_cndmask_b32_e64 v29, v29, v65, s12
	s_delay_alu instid0(VALU_DEP_2) | instskip(NEXT) | instid1(VALU_DEP_2)
	v_cndmask_b32_e64 v10, v10, v90, s13
	v_cndmask_b32_e64 v29, v29, v89, s13
	s_delay_alu instid0(VALU_DEP_2) | instskip(NEXT) | instid1(VALU_DEP_2)
	v_cndmask_b32_e64 v10, v10, v91, s14
	v_cndmask_b32_e64 v29, v29, v101, s14
	s_delay_alu instid0(VALU_DEP_2) | instskip(NEXT) | instid1(VALU_DEP_2)
	v_cndmask_b32_e64 v10, v10, v67, s15
	v_cndmask_b32_e64 v29, v29, v100, s15
	s_delay_alu instid0(VALU_DEP_2) | instskip(NEXT) | instid1(VALU_DEP_2)
	v_cndmask_b32_e64 v10, v10, v99, s16
	v_cndmask_b32_e64 v29, v29, v47, s16
	s_delay_alu instid0(VALU_DEP_2) | instskip(SKIP_2) | instid1(VALU_DEP_1)
	v_cndmask_b32_e64 v30, v10, v32, s19
	v_cndmask_b32_e64 v10, v249, v167, s2
	s_movk_i32 s2, 0xff0
	v_cndmask_b32_e64 v10, v10, v165, s3
	v_cmp_eq_u32_e64 s3, 6, v173
	s_delay_alu instid0(VALU_DEP_2) | instskip(SKIP_1) | instid1(VALU_DEP_2)
	v_cndmask_b32_e64 v10, v10, v116, s4
	v_cmp_eq_u32_e64 s4, 5, v173
	v_cndmask_b32_e64 v10, v10, v126, s5
	v_cmp_eq_u32_e64 s5, 3, v173
	v_cndmask_b32_e64 v33, v46, v16, s9
	v_cndmask_b32_e64 v29, v29, v16, s19
	s_delay_alu instid0(VALU_DEP_2) | instskip(NEXT) | instid1(VALU_DEP_1)
	v_mul_f64 v[27:28], v[33:34], v[78:79]
	v_fma_f64 v[70:71], v[29:30], v[76:77], v[27:28]
	s_delay_alu instid0(VALU_DEP_1)
	v_cndmask_b32_e32 v30, v16, v70, vcc_lo
	v_cndmask_b32_e64 v16, v135, v72, s18
	s_clause 0x7
	scratch_load_b128 v[131:134], off, off offset:3056
	scratch_load_b128 v[135:138], off, off offset:3072
	;; [unrolled: 1-line block ×8, first 2 shown]
	v_cndmask_b32_e64 v29, v47, v70, s20
	v_cndmask_b32_e64 v31, v91, v71, s22
	;; [unrolled: 1-line block ×8, first 2 shown]
	s_waitcnt vmcnt(5)
	v_mov_b32_e32 v11, v142
	s_clause 0x7
	scratch_load_b128 v[131:134], off, off offset:2928
	scratch_load_b128 v[135:138], off, off offset:2944
	;; [unrolled: 1-line block ×8, first 2 shown]
	v_dual_mov_b32 v90, v109 :: v_dual_mov_b32 v91, v110
	v_cndmask_b32_e64 v28, v100, v70, s21
	v_cndmask_b32_e64 v10, v10, v11, s6
	v_cmp_eq_u32_e64 s6, 8, v173
	s_waitcnt vmcnt(4)
	v_mov_b32_e32 v13, v144
	s_clause 0x7
	scratch_load_b128 v[131:134], off, off offset:3312
	scratch_load_b128 v[135:138], off, off offset:3328
	;; [unrolled: 1-line block ×8, first 2 shown]
	v_cndmask_b32_e64 v10, v10, v13, s7
	s_waitcnt vmcnt(4)
	v_mov_b32_e32 v12, v143
	s_clause 0x7
	scratch_load_b128 v[131:134], off, s2
	scratch_load_b128 v[135:138], off, s2 offset:16
	scratch_load_b128 v[139:142], off, s2 offset:32
	;; [unrolled: 1-line block ×7, first 2 shown]
	v_cndmask_b32_e32 v34, v32, v71, vcc_lo
	s_movk_i32 s2, 0x1070
	v_cndmask_b32_e64 v32, v67, v71, s21
	v_cndmask_b32_e64 v49, v49, v12, s7
	v_cmp_eq_u32_e64 s7, 7, v173
	s_waitcnt vmcnt(4)
	v_mov_b32_e32 v15, v146
	s_clause 0x7
	scratch_load_b128 v[131:134], off, off offset:3184
	scratch_load_b128 v[135:138], off, off offset:3200
	;; [unrolled: 1-line block ×8, first 2 shown]
	v_cndmask_b32_e64 v10, v10, v15, s8
	s_waitcnt vmcnt(4)
	v_mov_b32_e32 v14, v145
	s_clause 0x7
	scratch_load_b128 v[131:134], off, s2
	scratch_load_b128 v[135:138], off, s2 offset:16
	scratch_load_b128 v[139:142], off, s2 offset:32
	;; [unrolled: 1-line block ×7, first 2 shown]
	v_cmp_eq_u32_e64 s2, 4, v173
	v_cndmask_b32_e64 v49, v49, v14, s8
	v_cmp_eq_u32_e64 s8, 3, v102
	s_delay_alu instid0(VALU_DEP_2) | instskip(SKIP_1) | instid1(VALU_DEP_1)
	v_cndmask_b32_e64 v56, v49, v201, s9
	v_cndmask_b32_e64 v49, v248, v166, s10
	v_cndmask_b32_e64 v49, v49, v164, s11
	s_delay_alu instid0(VALU_DEP_1) | instskip(NEXT) | instid1(VALU_DEP_1)
	v_cndmask_b32_e64 v49, v49, v115, s12
	v_cndmask_b32_e64 v49, v49, v125, s13
	s_delay_alu instid0(VALU_DEP_1) | instskip(NEXT) | instid1(VALU_DEP_1)
	v_cndmask_b32_e64 v49, v49, v223, s14
	v_cndmask_b32_e64 v49, v49, v12, s15
	s_delay_alu instid0(VALU_DEP_1) | instskip(SKIP_2) | instid1(VALU_DEP_1)
	v_cndmask_b32_e64 v49, v49, v14, s16
	s_waitcnt vmcnt(3)
	v_mov_b32_e32 v18, v148
	v_cndmask_b32_e64 v57, v10, v18, s9
	v_cndmask_b32_e64 v10, v249, v167, s10
	v_cmp_eq_u32_e64 s9, 5, v102
	v_cmp_eq_u32_e64 s10, 8, v102
	s_delay_alu instid0(VALU_DEP_4) | instskip(NEXT) | instid1(VALU_DEP_4)
	v_mul_f64 v[54:55], v[56:57], v[78:79]
	v_cndmask_b32_e64 v10, v10, v165, s11
	v_cndmask_b32_e64 v56, v49, v201, s19
	v_cmp_eq_u32_e64 s11, 2, v173
	s_delay_alu instid0(VALU_DEP_3) | instskip(SKIP_1) | instid1(VALU_DEP_2)
	v_cndmask_b32_e64 v10, v10, v116, s12
	v_cmp_eq_u32_e64 s12, 4, v102
	v_cndmask_b32_e64 v10, v10, v126, s13
	v_cmp_eq_u32_e64 s13, 7, v102
	s_delay_alu instid0(VALU_DEP_2) | instskip(SKIP_1) | instid1(VALU_DEP_2)
	v_cndmask_b32_e64 v10, v10, v11, s14
	v_cmp_eq_u32_e64 s14, 6, v102
	v_cndmask_b32_e64 v10, v10, v13, s15
	v_cmp_eq_u32_e64 s15, 1, v102
	s_delay_alu instid0(VALU_DEP_2) | instskip(SKIP_1) | instid1(VALU_DEP_2)
	v_cndmask_b32_e64 v10, v10, v15, s16
	v_cmp_eq_u32_e64 s16, 2, v102
	v_cndmask_b32_e64 v57, v10, v18, s19
	v_cmp_eq_u32_e64 s19, 1, v173
	s_delay_alu instid0(VALU_DEP_2) | instskip(NEXT) | instid1(VALU_DEP_1)
	v_fma_f64 v[74:75], v[56:57], v[76:77], v[54:55]
	v_cndmask_b32_e64 v53, v14, v74, s20
	v_cndmask_b32_e64 v52, v12, v74, s21
	s_delay_alu instid0(VALU_DEP_3)
	v_cndmask_b32_e64 v57, v15, v75, s20
	v_cndmask_b32_e64 v56, v13, v75, s21
	v_cmp_eq_u32_e64 s20, 1, v174
	v_cmp_eq_u32_e64 s21, 0, v174
	v_cndmask_b32_e64 v49, v223, v74, s22
	v_cndmask_b32_e64 v55, v11, v75, s22
	v_cmp_eq_u32_e64 s22, 2, v174
	v_cndmask_b32_e64 v59, v253, v72, s20
	v_cndmask_b32_e64 v62, v254, v73, s20
	;; [unrolled: 1-line block ×13, first 2 shown]
	v_cndmask_b32_e32 v54, v201, v74, vcc_lo
	v_cndmask_b32_e64 v68, v68, v65, s16
	v_cndmask_b32_e64 v72, v72, v63, s16
	;; [unrolled: 1-line block ×4, first 2 shown]
	v_cndmask_b32_e32 v58, v18, v75, vcc_lo
	v_cndmask_b32_e64 v68, v68, v7, s8
	v_cndmask_b32_e64 v72, v72, v6, s8
	;; [unrolled: 1-line block ×29, first 2 shown]
	v_mov_b32_e32 v68, v83
	v_cndmask_b32_e64 v100, v109, v106, s15
	v_add_f64 v[78:79], -v[72:73], 0
	s_delay_alu instid0(VALU_DEP_4) | instskip(NEXT) | instid1(VALU_DEP_3)
	v_add_f64 v[80:81], v[76:77], -v[72:73]
	v_cndmask_b32_e64 v100, v100, v96, s16
	s_delay_alu instid0(VALU_DEP_2) | instskip(SKIP_1) | instid1(VALU_DEP_2)
	v_div_scale_f64 v[82:83], null, v[80:81], v[80:81], v[78:79]
	v_div_scale_f64 v[88:89], vcc_lo, v[78:79], v[80:81], v[78:79]
	v_rcp_f64_e32 v[84:85], v[82:83]
	s_waitcnt_depctr 0xfff
	v_fma_f64 v[86:87], -v[82:83], v[84:85], 1.0
	s_delay_alu instid0(VALU_DEP_1) | instskip(NEXT) | instid1(VALU_DEP_1)
	v_fma_f64 v[84:85], v[84:85], v[86:87], v[84:85]
	v_fma_f64 v[86:87], -v[82:83], v[84:85], 1.0
	s_delay_alu instid0(VALU_DEP_1) | instskip(NEXT) | instid1(VALU_DEP_1)
	v_fma_f64 v[84:85], v[84:85], v[86:87], v[84:85]
	v_mul_f64 v[86:87], v[88:89], v[84:85]
	s_delay_alu instid0(VALU_DEP_1) | instskip(SKIP_3) | instid1(VALU_DEP_4)
	v_fma_f64 v[82:83], -v[82:83], v[86:87], v[88:89]
	v_cndmask_b32_e64 v89, v108, v71, s20
	v_cndmask_b32_e64 v88, v93, v71, s22
	v_cndmask_b32_e64 v93, v166, v74, s20
	v_div_fmas_f64 v[82:83], v[82:83], v[84:85], v[86:87]
	v_cndmask_b32_e64 v84, v91, v69, s21
	v_cndmask_b32_e64 v91, v115, v74, s17
	v_mov_b32_e32 v90, v105
	v_cndmask_b32_e64 v86, v107, v70, s20
	v_cndmask_b32_e64 v87, v94, v70, s21
	;; [unrolled: 1-line block ×5, first 2 shown]
	s_delay_alu instid0(VALU_DEP_4) | instskip(NEXT) | instid1(VALU_DEP_2)
	v_cndmask_b32_e64 v70, v87, v86, s19
	v_cndmask_b32_e64 v101, v94, v93, s15
	;; [unrolled: 1-line block ×3, first 2 shown]
	s_delay_alu instid0(VALU_DEP_3) | instskip(NEXT) | instid1(VALU_DEP_3)
	v_cndmask_b32_e64 v70, v70, v85, s11
	v_cndmask_b32_e64 v101, v101, v92, s16
	s_delay_alu instid0(VALU_DEP_3) | instskip(NEXT) | instid1(VALU_DEP_3)
	v_cndmask_b32_e64 v99, v99, v92, s11
	v_cndmask_b32_e64 v70, v70, v46, s5
	s_delay_alu instid0(VALU_DEP_2)
	v_cndmask_b32_e64 v99, v99, v91, s5
	v_div_fixup_f64 v[78:79], v[82:83], v[80:81], v[78:79]
	v_cndmask_b32_e64 v83, v90, v69, s20
	v_cndmask_b32_e64 v82, v68, v69, s22
	v_cndmask_b32_e64 v68, v64, v66, s15
	v_cndmask_b32_e64 v90, v95, v71, s21
	v_cndmask_b32_e64 v80, v125, v74, s18
	v_cndmask_b32_e64 v40, v84, v83, s15
	v_cndmask_b32_e64 v74, v87, v86, s15
	v_cndmask_b32_e64 v68, v68, v67, s16
	v_cndmask_b32_e64 v71, v90, v89, s15
	v_cndmask_b32_e64 v50, v84, v83, s19
	v_cndmask_b32_e64 v102, v40, v82, s16
	v_cndmask_b32_e64 v74, v74, v85, s16
	v_cndmask_b32_e64 v68, v68, v128, s8
	v_cndmask_b32_e64 v71, v71, v88, s16
	v_cndmask_b32_e64 v50, v50, v82, s11
	v_cndmask_b32_e64 v102, v102, v130, s8
	v_cndmask_b32_e64 v74, v74, v46, s8
	v_cndmask_b32_e64 v68, v68, v127, s12
	v_cndmask_b32_e64 v71, v71, v48, s8
	v_cndmask_b32_e64 v103, v50, v130, s5
	v_cndmask_b32_e64 v102, v102, v129, s12
	v_cndmask_b32_e64 v74, v74, v45, s12
	v_cndmask_b32_e64 v68, v68, v114, s9
	v_cndmask_b32_e64 v71, v71, v47, s12
	v_cndmask_b32_e64 v95, v116, v75, s17
	v_cndmask_b32_e64 v102, v102, v121, s9
	v_cndmask_b32_e64 v81, v126, v75, s18
	v_cndmask_b32_e64 v68, v68, v113, s14
	v_cndmask_b32_e64 v50, v71, v31, s9
	v_cndmask_b32_e64 v71, v74, v27, s9
	v_cndmask_b32_e64 v102, v102, v122, s14
	v_cndmask_b32_e64 v69, v90, v89, s19
	v_cndmask_b32_e64 v68, v68, v98, s13
	v_cndmask_b32_e64 v104, v50, v32, s14
	v_cndmask_b32_e64 v71, v71, v28, s14
	v_cndmask_b32_e64 v74, v102, v123, s13
	v_cndmask_b32_e64 v102, v51, v128, s5
	v_add_f64 v[40:41], -v[78:79], 1.0
	v_cndmask_b32_e64 v50, v68, v178, s10
	v_cndmask_b32_e64 v68, v100, v95, s8
	;; [unrolled: 1-line block ×29, first 2 shown]
	s_delay_alu instid0(VALU_DEP_4) | instskip(NEXT) | instid1(VALU_DEP_4)
	v_cndmask_b32_e64 v102, v102, v98, s7
	v_cndmask_b32_e64 v101, v101, v32, s3
	s_delay_alu instid0(VALU_DEP_4)
	v_cndmask_b32_e64 v75, v75, v96, s11
	v_mul_f64 v[50:51], v[50:51], v[40:41]
	v_mul_f64 v[70:71], v[72:73], v[40:41]
	v_cndmask_b32_e64 v73, v100, v58, s10
	v_cndmask_b32_e64 v72, v74, v54, s10
	;; [unrolled: 1-line block ×3, first 2 shown]
	v_mul_f64 v[68:69], v[68:69], v[40:41]
	v_cndmask_b32_e64 v74, v103, v27, s4
	v_cndmask_b32_e64 v75, v75, v95, s5
	v_mul_f64 v[40:41], v[72:73], v[40:41]
	v_cndmask_b32_e64 v73, v100, v124, s6
	v_cndmask_b32_e64 v72, v102, v178, s6
	;; [unrolled: 1-line block ×5, first 2 shown]
	s_delay_alu instid0(VALU_DEP_3) | instskip(SKIP_3) | instid1(VALU_DEP_4)
	v_cndmask_b32_e64 v74, v74, v29, s7
	v_fma_f64 v[72:73], v[72:73], v[78:79], v[50:51]
	v_lshlrev_b32_e32 v10, 2, v174
	v_cndmask_b32_e64 v51, v100, v34, s6
	v_cndmask_b32_e64 v50, v74, v30, s6
	;; [unrolled: 1-line block ×4, first 2 shown]
	v_add3_u32 v10, 16, v10, 40
	v_fma_f64 v[70:71], v[76:77], v[78:79], v[70:71]
	v_fma_f64 v[68:69], v[50:51], v[78:79], v[68:69]
	v_cndmask_b32_e64 v50, v74, v56, s3
	v_cndmask_b32_e64 v51, v75, v52, s3
	scratch_load_b32 v10, v10, off
	v_mov_b32_e32 v99, v97
	v_cndmask_b32_e64 v50, v50, v57, s7
	v_cndmask_b32_e64 v74, v51, v53, s7
	s_delay_alu instid0(VALU_DEP_2)
	v_cndmask_b32_e64 v51, v50, v58, s6
	s_waitcnt vmcnt(0)
	v_cmp_eq_u32_e64 s3, 2, v10
	v_cmp_eq_u32_e64 s5, 0, v10
	v_cmp_eq_u32_e32 vcc_lo, 3, v10
	v_cmp_eq_u32_e64 s4, 1, v10
	v_cmp_eq_u32_e64 s2, 4, v10
	v_cndmask_b32_e64 v77, v88, v69, s3
	v_cndmask_b32_e64 v76, v85, v68, s3
	v_cndmask_b32_e64 v90, v90, v69, s5
	v_cndmask_b32_e32 v25, v130, v73, vcc_lo
	v_cndmask_b32_e64 v108, v89, v69, s4
	s_delay_alu instid0(VALU_DEP_4) | instskip(SKIP_4) | instid1(VALU_DEP_4)
	v_dual_mov_b32 v112, v77 :: v_dual_mov_b32 v111, v76
	v_cndmask_b32_e64 v50, v74, v54, s6
	v_cndmask_b32_e64 v89, v87, v68, s5
	v_mov_b32_e32 v118, v90
	v_dual_cndmask_b32 v175, v6, v70 :: v_dual_cndmask_b32 v176, v7, v71
	v_fma_f64 v[74:75], v[50:51], v[78:79], v[40:41]
	v_lshlrev_b32_e32 v4, 2, v10
	v_dual_cndmask_b32 v24, v128, v72 :: v_dual_mov_b32 v117, v89
	v_cndmask_b32_e64 v136, v17, v71, s2
	v_cndmask_b32_e64 v151, v129, v73, s2
	s_delay_alu instid0(VALU_DEP_4)
	v_add3_u32 v4, 16, v4, 40
	v_cndmask_b32_e64 v150, v127, v72, s2
	v_cndmask_b32_e64 v105, v83, v73, s4
	;; [unrolled: 1-line block ×4, first 2 shown]
	scratch_load_b32 v4, v4, off
	v_cndmask_b32_e64 v135, v16, v70, s2
	v_cndmask_b32_e32 v116, v95, v75, vcc_lo
	v_cndmask_b32_e32 v115, v91, v74, vcc_lo
	v_cndmask_b32_e64 v126, v81, v75, s2
	v_cndmask_b32_e64 v125, v80, v74, s2
	;; [unrolled: 1-line block ×8, first 2 shown]
	s_waitcnt vmcnt(0)
	s_clause 0x8
	scratch_store_b32 off, v4, off offset:100
	scratch_store_b128 off, v[18:21], off offset:2032
	scratch_store_b128 off, v[22:25], off offset:2048
	;; [unrolled: 1-line block ×8, first 2 shown]
	v_cndmask_b32_e64 v24, v82, v73, s3
	v_cndmask_b32_e64 v23, v67, v72, s3
	;; [unrolled: 1-line block ×4, first 2 shown]
	s_delay_alu instid0(VALU_DEP_3)
	v_dual_mov_b32 v101, v24 :: v_dual_mov_b32 v100, v23
	v_cndmask_b32_e64 v41, v47, v69, s2
	v_cndmask_b32_e64 v40, v45, v68, s2
	s_clause 0x7
	scratch_store_b128 off, v[32:35], off offset:240
	scratch_store_b128 off, v[36:39], off offset:256
	;; [unrolled: 1-line block ×8, first 2 shown]
	v_cmp_eq_u32_e64 s2, 7, v10
	v_dual_cndmask_b32 v41, v48, v69 :: v_dual_cndmask_b32 v40, v46, v68
	s_clause 0x7
	scratch_store_b128 off, v[34:37], off offset:112
	scratch_store_b128 off, v[38:41], off offset:128
	;; [unrolled: 1-line block ×8, first 2 shown]
	v_cmp_eq_u32_e32 vcc_lo, 8, v10
	v_cndmask_b32_e32 v17, v124, v73, vcc_lo
	v_cndmask_b32_e64 v246, v65, v71, s3
	v_cndmask_b32_e64 v245, v63, v70, s3
	;; [unrolled: 1-line block ×4, first 2 shown]
	v_cmp_eq_u32_e64 s3, 6, v10
	v_cmp_eq_u32_e64 s4, 5, v10
	s_clause 0x7
	scratch_store_b128 off, v[0:3], off offset:1008
	scratch_store_b128 off, v[4:7], off offset:1024
	;; [unrolled: 1-line block ×8, first 2 shown]
	v_cndmask_b32_e32 v16, v178, v72, vcc_lo
	v_cndmask_b32_e64 v252, v61, v71, s5
	v_cndmask_b32_e64 v251, v60, v70, s5
	s_movk_i32 s5, 0x1070
	v_dual_cndmask_b32 v96, v44, v71 :: v_dual_cndmask_b32 v201, v54, v74
	v_cndmask_b32_e64 v223, v49, v74, s4
	s_clause 0x7
	scratch_store_b128 off, v[0:3], off offset:1904
	scratch_store_b128 off, v[4:7], off offset:1920
	scratch_store_b128 off, v[8:11], off offset:1936
	scratch_store_b128 off, v[12:15], off offset:1952
	scratch_store_b128 off, v[16:19], off offset:1968
	scratch_store_b128 off, v[20:23], off offset:1984
	scratch_store_b128 off, v[24:27], off offset:2000
	scratch_store_b128 off, v[28:31], off offset:2016
	v_cndmask_b32_e64 v15, v123, v73, s2
	s_clause 0x7
	scratch_store_b128 off, v[0:3], off offset:1136
	scratch_store_b128 off, v[4:7], off offset:1152
	scratch_store_b128 off, v[8:11], off offset:1168
	scratch_store_b128 off, v[12:15], off offset:1184
	scratch_store_b128 off, v[16:19], off offset:1200
	scratch_store_b128 off, v[20:23], off offset:1216
	scratch_store_b128 off, v[24:27], off offset:1232
	scratch_store_b128 off, v[28:31], off offset:1248
	;; [unrolled: 10-line block ×7, first 2 shown]
	v_cndmask_b32_e32 v17, v34, v69, vcc_lo
	s_clause 0x7
	scratch_store_b128 off, v[0:3], off offset:752
	scratch_store_b128 off, v[4:7], off offset:768
	;; [unrolled: 1-line block ×8, first 2 shown]
	v_cndmask_b32_e32 v16, v30, v68, vcc_lo
	s_clause 0x7
	scratch_store_b128 off, v[0:3], off offset:880
	scratch_store_b128 off, v[4:7], off offset:896
	scratch_store_b128 off, v[8:11], off offset:912
	scratch_store_b128 off, v[12:15], off offset:928
	scratch_store_b128 off, v[16:19], off offset:944
	scratch_store_b128 off, v[20:23], off offset:960
	scratch_store_b128 off, v[24:27], off offset:976
	scratch_store_b128 off, v[28:31], off offset:992
	v_cndmask_b32_e64 v15, v33, v69, s2
	s_clause 0x7
	scratch_store_b128 off, v[0:3], off offset:2160
	scratch_store_b128 off, v[4:7], off offset:2176
	scratch_store_b128 off, v[8:11], off offset:2192
	scratch_store_b128 off, v[12:15], off offset:2208
	scratch_store_b128 off, v[16:19], off offset:2224
	scratch_store_b128 off, v[20:23], off offset:2240
	scratch_store_b128 off, v[24:27], off offset:2256
	scratch_store_b128 off, v[28:31], off offset:2272
	v_cndmask_b32_e64 v14, v29, v68, s2
	;; [unrolled: 10-line block ×6, first 2 shown]
	s_clause 0x7
	scratch_store_b128 off, v[1:4], off offset:2800
	scratch_store_b128 off, v[5:8], off offset:2816
	scratch_store_b128 off, v[9:12], off offset:2832
	scratch_store_b128 off, v[13:16], off offset:2848
	scratch_store_b128 off, v[17:20], off offset:2864
	scratch_store_b128 off, v[21:24], off offset:2880
	scratch_store_b128 off, v[25:28], off offset:2896
	scratch_store_b128 off, v[29:32], off offset:2912
	v_cndmask_b32_e32 v16, v38, v70, vcc_lo
	s_clause 0x7
	scratch_store_b128 off, v[0:3], off offset:3952
	scratch_store_b128 off, v[4:7], off offset:3968
	scratch_store_b128 off, v[8:11], off offset:3984
	scratch_store_b128 off, v[12:15], off offset:4000
	scratch_store_b128 off, v[16:19], off offset:4016
	scratch_store_b128 off, v[20:23], off offset:4032
	scratch_store_b128 off, v[24:27], off offset:4048
	scratch_store_b128 off, v[28:31], off offset:4064
	v_cndmask_b32_e64 v15, v43, v71, s2
	s_clause 0x7
	scratch_store_b128 off, v[0:3], off offset:3568
	scratch_store_b128 off, v[4:7], off offset:3584
	scratch_store_b128 off, v[8:11], off offset:3600
	scratch_store_b128 off, v[12:15], off offset:3616
	scratch_store_b128 off, v[16:19], off offset:3632
	scratch_store_b128 off, v[20:23], off offset:3648
	scratch_store_b128 off, v[24:27], off offset:3664
	scratch_store_b128 off, v[28:31], off offset:3680
	v_cndmask_b32_e64 v14, v37, v70, s2
	;; [unrolled: 10-line block ×6, first 2 shown]
	s_clause 0x7
	scratch_store_b128 off, v[4:7], off offset:624
	scratch_store_b128 off, v[8:11], off offset:640
	scratch_store_b128 off, v[12:15], off offset:656
	scratch_store_b128 off, v[16:19], off offset:672
	scratch_store_b128 off, v[20:23], off offset:688
	scratch_store_b128 off, v[24:27], off offset:704
	scratch_store_b128 off, v[28:31], off offset:720
	scratch_store_b128 off, v[32:35], off offset:736
	v_cndmask_b32_e32 v17, v58, v75, vcc_lo
	s_clause 0x7
	scratch_store_b128 off, v[0:3], s5
	scratch_store_b128 off, v[4:7], s5 offset:16
	scratch_store_b128 off, v[8:11], s5 offset:32
	;; [unrolled: 1-line block ×7, first 2 shown]
	v_cndmask_b32_e64 v15, v57, v75, s2
	s_movk_i32 s5, 0xff0
	s_clause 0x7
	scratch_store_b128 off, v[0:3], s5
	scratch_store_b128 off, v[4:7], s5 offset:16
	scratch_store_b128 off, v[8:11], s5 offset:32
	;; [unrolled: 1-line block ×7, first 2 shown]
	v_cndmask_b32_e64 v14, v53, v74, s2
	s_clause 0x7
	scratch_store_b128 off, v[0:3], off offset:3184
	scratch_store_b128 off, v[4:7], off offset:3200
	scratch_store_b128 off, v[8:11], off offset:3216
	scratch_store_b128 off, v[12:15], off offset:3232
	scratch_store_b128 off, v[16:19], off offset:3248
	scratch_store_b128 off, v[20:23], off offset:3264
	scratch_store_b128 off, v[24:27], off offset:3280
	scratch_store_b128 off, v[28:31], off offset:3296
	v_cndmask_b32_e64 v13, v56, v75, s3
	s_clause 0x7
	scratch_store_b128 off, v[0:3], off offset:2928
	scratch_store_b128 off, v[4:7], off offset:2944
	scratch_store_b128 off, v[8:11], off offset:2960
	scratch_store_b128 off, v[12:15], off offset:2976
	scratch_store_b128 off, v[16:19], off offset:2992
	scratch_store_b128 off, v[20:23], off offset:3008
	scratch_store_b128 off, v[24:27], off offset:3024
	scratch_store_b128 off, v[28:31], off offset:3040
	;; [unrolled: 10-line block ×4, first 2 shown]
	v_dual_mov_b32 v110, v26 :: v_dual_mov_b32 v109, v25
.LBB4_62:
	s_or_b32 exec_lo, exec_lo, s26
	s_mov_b32 s2, 0
	scratch_store_b32 off, v177, off offset:96
	s_mov_b32 s3, exec_lo
	s_clause 0x7
	scratch_load_b128 v[14:17], off, off offset:3568
	scratch_load_b128 v[18:21], off, off offset:3584
	;; [unrolled: 1-line block ×8, first 2 shown]
	s_movk_i32 s4, 0x1070
	s_and_b32 s0, s3, s0
	s_waitcnt vmcnt(4)
	v_mov_b32_e32 v15, v29
	s_clause 0x7
	scratch_load_b128 v[16:19], off, off offset:3696
	scratch_load_b128 v[20:23], off, off offset:3712
	scratch_load_b128 v[24:27], off, off offset:3728
	scratch_load_b128 v[28:31], off, off offset:3744
	scratch_load_b128 v[32:35], off, off offset:3760
	scratch_load_b128 v[36:39], off, off offset:3776
	scratch_load_b128 v[40:43], off, off offset:3792
	scratch_load_b128 v[44:47], off, off offset:3808
	s_waitcnt vmcnt(4)
	v_mov_b32_e32 v14, v29
	s_clause 0x7
	scratch_load_b128 v[16:19], off, off offset:3824
	scratch_load_b128 v[20:23], off, off offset:3840
	scratch_load_b128 v[24:27], off, off offset:3856
	scratch_load_b128 v[28:31], off, off offset:3872
	scratch_load_b128 v[32:35], off, off offset:3888
	scratch_load_b128 v[36:39], off, off offset:3904
	scratch_load_b128 v[40:43], off, off offset:3920
	scratch_load_b128 v[44:47], off, off offset:3936
	;; [unrolled: 11-line block ×3, first 2 shown]
	s_waitcnt vmcnt(3)
	v_mov_b32_e32 v17, v33
	s_clause 0x7
	scratch_load_b128 v[33:36], off, s4
	scratch_load_b128 v[37:40], off, s4 offset:16
	scratch_load_b128 v[41:44], off, s4 offset:32
	;; [unrolled: 1-line block ×7, first 2 shown]
	s_mov_b32 exec_lo, s0
	s_cbranch_execz .LBB4_72
; %bb.63:
	v_cmp_gt_f64_e32 vcc_lo, 0, v[170:171]
	s_mov_b32 s4, 0
	s_branch .LBB4_65
.LBB4_64:                               ;   in Loop: Header=BB4_65 Depth=1
	s_or_b32 exec_lo, exec_lo, s0
	s_waitcnt vmcnt(0)
	v_cmp_gt_i32_e64 s0, 0, v2
	v_mov_b32_e32 v163, v2
	s_delay_alu instid0(VALU_DEP_2) | instskip(NEXT) | instid1(SALU_CYCLE_1)
	s_or_b32 s4, s0, s4
	s_and_not1_b32 exec_lo, exec_lo, s4
	s_cbranch_execz .LBB4_71
.LBB4_65:                               ; =>This Inner Loop Header: Depth=1
	s_clause 0x7
	scratch_load_b128 v[18:21], off, off offset:624
	scratch_load_b128 v[22:25], off, off offset:640
	;; [unrolled: 1-line block ×8, first 2 shown]
	v_cmp_eq_u32_e64 s0, 1, v163
	v_cmp_eq_u32_e64 s2, 2, v163
	s_delay_alu instid0(VALU_DEP_2) | instskip(SKIP_2) | instid1(VALU_DEP_3)
	v_cndmask_b32_e64 v2, v252, v254, s0
	v_cndmask_b32_e64 v3, v251, v253, s0
	v_cmp_eq_u32_e64 s0, 3, v163
	v_cndmask_b32_e64 v2, v2, v246, s2
	s_delay_alu instid0(VALU_DEP_3) | instskip(SKIP_1) | instid1(VALU_DEP_2)
	v_cndmask_b32_e64 v3, v3, v245, s2
	s_mov_b32 s2, 0
	v_cndmask_b32_e64 v2, v2, v176, s0
	s_delay_alu instid0(VALU_DEP_2) | instskip(SKIP_1) | instid1(VALU_DEP_1)
	v_cndmask_b32_e64 v3, v3, v175, s0
	v_cmp_eq_u32_e64 s0, 4, v163
	v_cndmask_b32_e64 v2, v2, v136, s0
	s_delay_alu instid0(VALU_DEP_3) | instskip(SKIP_1) | instid1(VALU_DEP_1)
	v_cndmask_b32_e64 v3, v3, v135, s0
	v_cmp_eq_u32_e64 s0, 5, v163
	v_cndmask_b32_e64 v2, v2, v16, s0
	s_waitcnt vmcnt(5)
	s_delay_alu instid0(VALU_DEP_3)
	v_cndmask_b32_e64 v3, v3, v28, s0
	s_clause 0x7
	scratch_load_b128 v[18:21], off, off offset:496
	scratch_load_b128 v[22:25], off, off offset:512
	;; [unrolled: 1-line block ×8, first 2 shown]
	v_cmp_eq_u32_e64 s0, 6, v163
	s_delay_alu instid0(VALU_DEP_1)
	v_cndmask_b32_e64 v2, v2, v14, s0
	s_waitcnt vmcnt(4)
	v_cndmask_b32_e64 v3, v3, v30, s0
	s_clause 0x7
	scratch_load_b128 v[18:21], off, off offset:368
	scratch_load_b128 v[22:25], off, off offset:384
	;; [unrolled: 1-line block ×8, first 2 shown]
	v_cmp_eq_u32_e64 s0, 7, v163
	s_delay_alu instid0(VALU_DEP_1) | instskip(SKIP_3) | instid1(VALU_DEP_1)
	v_cndmask_b32_e64 v2, v2, v15, s0
	s_waitcnt vmcnt(4)
	v_cndmask_b32_e64 v4, v3, v32, s0
	v_cmp_eq_u32_e64 s0, 8, v163
	v_cndmask_b32_e64 v3, v2, v96, s0
	s_delay_alu instid0(VALU_DEP_3) | instskip(SKIP_1) | instid1(VALU_DEP_2)
	v_cndmask_b32_e64 v2, v4, v17, s0
	v_lshl_add_u32 v4, v163, 2, v99
	v_cmp_ngt_f64_e64 s0, 0, v[2:3]
	scratch_load_b32 v2, v4, off
                                        ; implicit-def: $vgpr3
	s_and_saveexec_b32 s5, s0
	s_delay_alu instid0(SALU_CYCLE_1)
	s_xor_b32 s5, exec_lo, s5
	s_cbranch_execnz .LBB4_68
; %bb.66:                               ;   in Loop: Header=BB4_65 Depth=1
	s_and_not1_saveexec_b32 s0, s5
	s_cbranch_execnz .LBB4_69
.LBB4_67:                               ;   in Loop: Header=BB4_65 Depth=1
	s_or_b32 exec_lo, exec_lo, s0
	s_and_saveexec_b32 s0, s2
	s_cbranch_execz .LBB4_64
	s_branch .LBB4_70
.LBB4_68:                               ;   in Loop: Header=BB4_65 Depth=1
	scratch_load_b32 v3, off, off offset:96
                                        ; implicit-def: $vgpr4
	s_waitcnt vmcnt(0)
	v_cmp_eq_u32_e64 s0, -1, v3
	v_mov_b32_e32 v3, 0x60
	s_delay_alu instid0(VALU_DEP_2)
	s_and_b32 s2, s0, exec_lo
	s_and_not1_saveexec_b32 s0, s5
	s_cbranch_execz .LBB4_67
.LBB4_69:                               ;   in Loop: Header=BB4_65 Depth=1
	scratch_load_b32 v8, off, off offset:100
	v_mov_b32_e32 v3, 0x64
	s_or_b32 s2, s2, exec_lo
	s_waitcnt vmcnt(0)
	scratch_store_b32 v4, v8, off
	s_or_b32 exec_lo, exec_lo, s0
	s_and_saveexec_b32 s0, s2
	s_cbranch_execz .LBB4_64
.LBB4_70:                               ;   in Loop: Header=BB4_65 Depth=1
	scratch_store_b32 v3, v163, off
	s_branch .LBB4_64
.LBB4_71:
	s_or_b32 exec_lo, exec_lo, s4
	s_delay_alu instid0(SALU_CYCLE_1)
	s_and_b32 s2, vcc_lo, exec_lo
.LBB4_72:
	s_or_b32 exec_lo, exec_lo, s3
	s_and_saveexec_b32 s0, s1
; %bb.73:
	v_cmp_gt_f64_e32 vcc_lo, 0, v[168:169]
	v_lshlrev_b32_e32 v0, 2, v172
	v_lshlrev_b32_e32 v1, 2, v174
	;; [unrolled: 1-line block ×3, first 2 shown]
	s_delay_alu instid0(VALU_DEP_3) | instskip(NEXT) | instid1(VALU_DEP_3)
	v_add3_u32 v0, 16, v0, 40
	v_add3_u32 v1, 16, v1, 40
	s_delay_alu instid0(VALU_DEP_3) | instskip(SKIP_1) | instid1(SALU_CYCLE_1)
	v_add3_u32 v2, 16, v2, 40
	s_or_b32 s1, vcc_lo, s2
	v_cndmask_b32_e64 v3, v173, -1, s1
	s_clause 0x2
	scratch_store_b32 v0, v174, off
	scratch_store_b32 v1, v10, off
	;; [unrolled: 1-line block ×3, first 2 shown]
; %bb.74:
	s_or_b32 exec_lo, exec_lo, s0
	s_clause 0x1
	scratch_load_b128 v[0:3], off, off offset:56
	scratch_load_b128 v[8:11], off, off offset:72
	v_mov_b32_e32 v84, -1
	v_dual_mov_b32 v98, -1 :: v_dual_mov_b32 v85, -1
	v_mov_b32_e32 v140, 0
	v_dual_mov_b32 v144, -1 :: v_dual_mov_b32 v141, 0
	s_waitcnt vmcnt(1)
	scratch_store_b128 off, v[0:3], off offset:16
	s_waitcnt vmcnt(0)
	scratch_store_b128 off, v[8:11], off offset:32
	s_clause 0x1
	scratch_load_b32 v0, off, off offset:88
	scratch_load_b32 v113, off, off offset:96
	s_waitcnt vmcnt(1)
	scratch_store_b32 off, v0, off offset:48
	s_clause 0x7
	scratch_load_b128 v[2:5], off, off offset:3056
	scratch_load_b128 v[6:9], off, off offset:3072
	;; [unrolled: 1-line block ×8, first 2 shown]
	s_waitcnt vmcnt(8)
	v_cmp_eq_u32_e32 vcc_lo, 1, v113
	v_cmp_eq_u32_e64 s0, 2, v113
	v_dual_cndmask_b32 v0, v249, v167 :: v_dual_cndmask_b32 v1, v248, v166
	v_cmp_eq_u32_e32 vcc_lo, 3, v113
	s_delay_alu instid0(VALU_DEP_2) | instskip(NEXT) | instid1(VALU_DEP_3)
	v_cndmask_b32_e64 v0, v0, v165, s0
	v_cndmask_b32_e64 v1, v1, v164, s0
	s_movk_i32 s0, 0xff0
	s_delay_alu instid0(VALU_DEP_1) | instskip(SKIP_1) | instid1(VALU_DEP_2)
	v_dual_cndmask_b32 v0, v0, v116 :: v_dual_cndmask_b32 v1, v1, v115
	v_cmp_eq_u32_e32 vcc_lo, 4, v113
	v_dual_cndmask_b32 v0, v0, v126 :: v_dual_cndmask_b32 v1, v1, v125
	v_cmp_eq_u32_e32 vcc_lo, 5, v113
	s_waitcnt vmcnt(5)
	s_delay_alu instid0(VALU_DEP_2)
	v_dual_cndmask_b32 v1, v1, v223 :: v_dual_cndmask_b32 v0, v0, v13
	s_clause 0x7
	scratch_load_b128 v[2:5], off, off offset:2928
	scratch_load_b128 v[6:9], off, off offset:2944
	;; [unrolled: 1-line block ×8, first 2 shown]
	v_cmp_eq_u32_e32 vcc_lo, 6, v113
	s_waitcnt vmcnt(4)
	v_cndmask_b32_e32 v0, v0, v15, vcc_lo
	s_clause 0x7
	scratch_load_b128 v[2:5], off, off offset:3312
	scratch_load_b128 v[6:9], off, off offset:3328
	;; [unrolled: 1-line block ×8, first 2 shown]
	s_waitcnt vmcnt(4)
	v_cndmask_b32_e32 v1, v1, v14, vcc_lo
	s_clause 0x7
	scratch_load_b128 v[2:5], off, s0
	scratch_load_b128 v[6:9], off, s0 offset:16
	scratch_load_b128 v[10:13], off, s0 offset:32
	;; [unrolled: 1-line block ×7, first 2 shown]
	v_cmp_eq_u32_e32 vcc_lo, 7, v113
	v_cmp_lt_i32_e64 s0, -1, v113
	s_waitcnt vmcnt(4)
	v_cndmask_b32_e32 v0, v0, v17, vcc_lo
	s_clause 0x8
	scratch_load_b128 v[2:5], off, off offset:3184
	scratch_load_b128 v[6:9], off, off offset:3200
	;; [unrolled: 1-line block ×8, first 2 shown]
	scratch_load_b32 v114, off, off offset:100
	s_waitcnt vmcnt(7)
	v_mov_b32_e32 v8, v84
	scratch_store_b32 off, v113, off offset:104
	v_mov_b32_e32 v9, v85
	s_waitcnt vmcnt(5)
	v_cndmask_b32_e32 v1, v1, v16, vcc_lo
	s_waitcnt vmcnt(0)
	scratch_store_b32 off, v114, off offset:108
	v_cmp_eq_u32_e32 vcc_lo, 8, v113
	v_dual_cndmask_b32 v143, v0, v50 :: v_dual_cndmask_b32 v142, v1, v201
	s_and_saveexec_b32 s5, s0
	s_cbranch_execz .LBB4_78
; %bb.75:
	s_movk_i32 s1, 0xff0
	s_delay_alu instid0(VALU_DEP_1)
	v_dual_mov_b32 v84, -1 :: v_dual_mov_b32 v9, v142
	s_clause 0x7
	scratch_load_b128 v[11:14], off, s1
	scratch_load_b128 v[15:18], off, s1 offset:16
	scratch_load_b128 v[19:22], off, s1 offset:32
	;; [unrolled: 1-line block ×7, first 2 shown]
	v_dual_mov_b32 v98, -1 :: v_dual_mov_b32 v5, v113
	s_mov_b32 s6, 0
	s_waitcnt vmcnt(4)
	v_mov_b32_e32 v16, v26
	s_clause 0x7
	scratch_load_b128 v[17:20], off, off offset:2928
	scratch_load_b128 v[21:24], off, off offset:2944
	;; [unrolled: 1-line block ×8, first 2 shown]
	s_waitcnt vmcnt(4)
	v_dual_mov_b32 v8, -1 :: v_dual_mov_b32 v17, v30
	s_clause 0x7
	scratch_load_b128 v[18:21], off, off offset:3056
	scratch_load_b128 v[22:25], off, off offset:3072
	;; [unrolled: 1-line block ×8, first 2 shown]
	s_waitcnt vmcnt(5)
	v_dual_mov_b32 v144, -1 :: v_dual_mov_b32 v11, v29
	s_clause 0xf
	scratch_load_b128 v[18:21], off, off offset:3184
	scratch_load_b128 v[22:25], off, off offset:3200
	;; [unrolled: 1-line block ×16, first 2 shown]
	s_waitcnt vmcnt(12)
	v_dual_mov_b32 v10, v143 :: v_dual_mov_b32 v19, v32
	s_waitcnt vmcnt(4)
	v_mov_b32_e32 v12, v63
.LBB4_76:                               ; =>This Inner Loop Header: Depth=1
	s_delay_alu instid0(VALU_DEP_1) | instskip(NEXT) | instid1(VALU_DEP_3)
	v_lshl_add_u32 v0, v5, 2, v99
	v_mov_b32_e32 v141, v10
	scratch_load_b32 v15, v0, off
	v_mov_b32_e32 v140, v9
	s_delay_alu instid0(VALU_DEP_1) | instskip(SKIP_3) | instid1(VALU_DEP_1)
	v_cmp_gt_f64_e64 s3, 0, v[140:141]
	s_waitcnt vmcnt(0)
	v_cmp_gt_i32_e32 vcc_lo, 0, v15
	v_cndmask_b32_e32 v18, v15, v113, vcc_lo
	v_cmp_eq_u32_e64 s1, 1, v18
	v_cmp_eq_u32_e64 s2, 2, v18
	s_delay_alu instid0(VALU_DEP_2) | instskip(SKIP_2) | instid1(VALU_DEP_3)
	v_cndmask_b32_e64 v0, v249, v167, s1
	v_cndmask_b32_e64 v1, v248, v166, s1
	v_cmp_eq_u32_e64 s1, 3, v18
	v_cndmask_b32_e64 v0, v0, v165, s2
	s_delay_alu instid0(VALU_DEP_3) | instskip(NEXT) | instid1(VALU_DEP_2)
	v_cndmask_b32_e64 v1, v1, v164, s2
	v_cndmask_b32_e64 v0, v0, v116, s1
	s_delay_alu instid0(VALU_DEP_2) | instskip(SKIP_1) | instid1(VALU_DEP_1)
	v_cndmask_b32_e64 v1, v1, v115, s1
	v_cmp_eq_u32_e64 s1, 4, v18
	v_cndmask_b32_e64 v0, v0, v126, s1
	s_delay_alu instid0(VALU_DEP_3) | instskip(SKIP_1) | instid1(VALU_DEP_1)
	v_cndmask_b32_e64 v1, v1, v125, s1
	v_cmp_eq_u32_e64 s1, 5, v18
	v_cndmask_b32_e64 v0, v0, v11, s1
	s_delay_alu instid0(VALU_DEP_3) | instskip(SKIP_1) | instid1(VALU_DEP_1)
	;; [unrolled: 4-line block ×4, first 2 shown]
	v_cndmask_b32_e64 v1, v1, v19, s1
	v_cmp_eq_u32_e64 s1, 8, v18
	v_cndmask_b32_e64 v14, v0, v50, s1
	s_delay_alu instid0(VALU_DEP_3) | instskip(SKIP_1) | instid1(VALU_DEP_2)
	v_cndmask_b32_e64 v13, v1, v201, s1
	v_cmp_le_f64_e64 s1, 0, v[140:141]
	v_cmp_gt_f64_e64 s2, 0, v[13:14]
	v_cmp_le_f64_e64 s4, 0, v[13:14]
	v_dual_mov_b32 v9, v13 :: v_dual_mov_b32 v10, v14
	s_delay_alu instid0(VALU_DEP_3) | instskip(NEXT) | instid1(VALU_DEP_2)
	s_and_b32 s1, s1, s2
	s_and_b32 s2, s3, s4
	v_cndmask_b32_e64 v8, v8, v18, s1
	v_cndmask_b32_e64 v144, v144, v18, s2
	;; [unrolled: 1-line block ×4, first 2 shown]
	v_mov_b32_e32 v5, v15
	s_or_b32 s6, vcc_lo, s6
	s_delay_alu instid0(SALU_CYCLE_1)
	s_and_not1_b32 exec_lo, exec_lo, s6
	s_cbranch_execnz .LBB4_76
; %bb.77:
	s_or_b32 exec_lo, exec_lo, s6
.LBB4_78:
	s_delay_alu instid0(SALU_CYCLE_1) | instskip(SKIP_4) | instid1(VALU_DEP_3)
	s_or_b32 exec_lo, exec_lo, s5
	v_dual_mov_b32 v169, v96 :: v_dual_mov_b32 v14, -1
	v_cmp_lt_i32_e64 s1, -1, v98
	v_mov_b32_e32 v145, -1
	v_mov_b32_e32 v29, -1
	s_and_saveexec_b32 s26, s1
	s_cbranch_execz .LBB4_80
; %bb.79:
	s_clause 0x7
	scratch_load_b128 v[10:13], off, off offset:3056
	scratch_load_b128 v[14:17], off, off offset:3072
	;; [unrolled: 1-line block ×8, first 2 shown]
	s_movk_i32 s9, 0xff0
	v_cmp_eq_u32_e64 s2, 1, v8
	v_cmp_eq_u32_e64 s3, 2, v8
	;; [unrolled: 1-line block ×5, first 2 shown]
	v_cndmask_b32_e64 v9, v249, v167, s2
	v_cmp_eq_u32_e64 s7, 6, v8
	v_cmp_eq_u32_e64 s8, 7, v8
	v_mov_b32_e32 v86, v50
	v_cmp_eq_u32_e64 s11, 1, v98
	v_cndmask_b32_e64 v9, v9, v165, s3
	v_cmp_eq_u32_e64 s12, 2, v98
	v_cmp_eq_u32_e64 s13, 3, v98
	;; [unrolled: 1-line block ×4, first 2 shown]
	v_cndmask_b32_e64 v9, v9, v116, s4
	v_cmp_eq_u32_e64 s17, 6, v98
	v_cmp_eq_u32_e64 s18, 7, v98
	;; [unrolled: 1-line block ×4, first 2 shown]
	v_cndmask_b32_e64 v9, v9, v126, s5
	v_dual_mov_b32 v94, v117 :: v_dual_mov_b32 v95, v118
	v_cmp_eq_u32_e64 s21, 6, v114
	v_cmp_eq_u32_e64 s22, 5, v114
	;; [unrolled: 1-line block ×4, first 2 shown]
	v_dual_mov_b32 v82, v100 :: v_dual_mov_b32 v83, v101
	s_waitcnt vmcnt(5)
	v_mov_b32_e32 v157, v21
	s_clause 0x7
	scratch_load_b128 v[10:13], off, off offset:2928
	scratch_load_b128 v[14:17], off, off offset:2944
	;; [unrolled: 1-line block ×8, first 2 shown]
	s_waitcnt vmcnt(4)
	v_mov_b32_e32 v156, v23
	s_clause 0x7
	scratch_load_b128 v[10:13], off, s9
	scratch_load_b128 v[14:17], off, s9 offset:16
	scratch_load_b128 v[18:21], off, s9 offset:32
	;; [unrolled: 1-line block ×7, first 2 shown]
	v_cmp_eq_u32_e64 s9, 8, v8
	v_cndmask_b32_e64 v8, v248, v166, s2
	v_cndmask_b32_e64 v9, v9, v157, s6
	s_delay_alu instid0(VALU_DEP_2) | instskip(NEXT) | instid1(VALU_DEP_2)
	v_cndmask_b32_e64 v8, v8, v164, s3
	v_cndmask_b32_e64 v9, v9, v156, s7
	s_delay_alu instid0(VALU_DEP_2) | instskip(NEXT) | instid1(VALU_DEP_1)
	v_cndmask_b32_e64 v8, v8, v115, s4
	v_cndmask_b32_e64 v8, v8, v125, s5
	s_delay_alu instid0(VALU_DEP_1)
	v_cndmask_b32_e64 v8, v8, v223, s6
	s_waitcnt vmcnt(4)
	v_mov_b32_e32 v87, v25
	s_clause 0x7
	scratch_load_b128 v[10:13], off, off offset:3312
	scratch_load_b128 v[14:17], off, off offset:3328
	;; [unrolled: 1-line block ×8, first 2 shown]
	s_waitcnt vmcnt(4)
	v_mov_b32_e32 v159, v22
	s_clause 0x7
	scratch_load_b128 v[10:13], off, off offset:3184
	scratch_load_b128 v[14:17], off, off offset:3200
	;; [unrolled: 1-line block ×8, first 2 shown]
	v_cndmask_b32_e64 v8, v8, v159, s7
	s_waitcnt vmcnt(4)
	v_mov_b32_e32 v158, v24
	v_cndmask_b32_e64 v9, v9, v87, s8
	s_delay_alu instid0(VALU_DEP_2) | instskip(NEXT) | instid1(VALU_DEP_2)
	v_cndmask_b32_e64 v8, v8, v158, s8
	v_cndmask_b32_e64 v103, v9, v86, s9
	;; [unrolled: 1-line block ×3, first 2 shown]
	s_delay_alu instid0(VALU_DEP_3) | instskip(SKIP_1) | instid1(VALU_DEP_3)
	v_cndmask_b32_e64 v102, v8, v201, s9
	v_cndmask_b32_e64 v8, v249, v167, s11
	;; [unrolled: 1-line block ×3, first 2 shown]
	s_delay_alu instid0(VALU_DEP_2) | instskip(NEXT) | instid1(VALU_DEP_2)
	v_cndmask_b32_e64 v8, v8, v165, s12
	v_cndmask_b32_e64 v9, v9, v115, s13
	s_delay_alu instid0(VALU_DEP_2) | instskip(NEXT) | instid1(VALU_DEP_2)
	v_cndmask_b32_e64 v8, v8, v116, s13
	v_cndmask_b32_e64 v9, v9, v125, s15
	;; [unrolled: 3-line block ×6, first 2 shown]
	s_delay_alu instid0(VALU_DEP_2) | instskip(SKIP_1) | instid1(VALU_DEP_2)
	v_cndmask_b32_e64 v153, v8, v86, s19
	v_add_f64 v[8:9], -v[102:103], 0
	v_add_f64 v[13:14], v[152:153], -v[102:103]
	s_delay_alu instid0(VALU_DEP_1) | instskip(NEXT) | instid1(VALU_DEP_1)
	v_div_scale_f64 v[18:19], null, v[13:14], v[13:14], v[8:9]
	v_rcp_f64_e32 v[20:21], v[18:19]
	s_waitcnt_depctr 0xfff
	v_fma_f64 v[22:23], -v[18:19], v[20:21], 1.0
	s_delay_alu instid0(VALU_DEP_1) | instskip(NEXT) | instid1(VALU_DEP_1)
	v_fma_f64 v[20:21], v[20:21], v[22:23], v[20:21]
	v_fma_f64 v[22:23], -v[18:19], v[20:21], 1.0
	s_delay_alu instid0(VALU_DEP_1) | instskip(SKIP_1) | instid1(VALU_DEP_1)
	v_fma_f64 v[20:21], v[20:21], v[22:23], v[20:21]
	v_div_scale_f64 v[22:23], vcc_lo, v[8:9], v[13:14], v[8:9]
	v_mul_f64 v[24:25], v[22:23], v[20:21]
	s_delay_alu instid0(VALU_DEP_1) | instskip(NEXT) | instid1(VALU_DEP_1)
	v_fma_f64 v[18:19], -v[18:19], v[24:25], v[22:23]
	v_div_fmas_f64 v[18:19], v[18:19], v[20:21], v[24:25]
	v_cmp_eq_u32_e32 vcc_lo, 8, v114
	s_delay_alu instid0(VALU_DEP_2)
	v_div_fixup_f64 v[154:155], v[18:19], v[13:14], v[8:9]
	s_clause 0x7
	scratch_load_b128 v[13:16], off, off offset:2032
	scratch_load_b128 v[17:20], off, off offset:2048
	;; [unrolled: 1-line block ×8, first 2 shown]
	v_cndmask_b32_e64 v8, v110, v105, s11
	v_cndmask_b32_e64 v9, v109, v104, s11
	s_delay_alu instid0(VALU_DEP_2) | instskip(NEXT) | instid1(VALU_DEP_2)
	v_cndmask_b32_e64 v8, v8, v83, s12
	v_cndmask_b32_e64 v9, v9, v82, s12
	v_add_f64 v[80:81], -v[154:155], 1.0
	s_waitcnt vmcnt(6)
	v_dual_mov_b32 v69, v20 :: v_dual_mov_b32 v68, v19
	s_clause 0x7
	scratch_load_b128 v[17:20], off, off offset:1392
	scratch_load_b128 v[21:24], off, off offset:1408
	;; [unrolled: 1-line block ×8, first 2 shown]
	v_cndmask_b32_e64 v8, v8, v69, s13
	v_cndmask_b32_e64 v9, v9, v68, s13
	s_delay_alu instid0(VALU_DEP_2) | instskip(NEXT) | instid1(VALU_DEP_2)
	v_cndmask_b32_e64 v8, v8, v151, s15
	v_cndmask_b32_e64 v9, v9, v150, s15
	s_waitcnt vmcnt(5)
	v_mov_b32_e32 v70, v28
	s_clause 0x7
	scratch_load_b128 v[17:20], off, off offset:1520
	scratch_load_b128 v[21:24], off, off offset:1536
	;; [unrolled: 1-line block ×8, first 2 shown]
	s_waitcnt vmcnt(5)
	v_mov_b32_e32 v71, v27
	s_clause 0x7
	scratch_load_b128 v[17:20], off, off offset:1264
	scratch_load_b128 v[21:24], off, off offset:1280
	;; [unrolled: 1-line block ×8, first 2 shown]
	v_cndmask_b32_e64 v8, v8, v70, s16
	v_cndmask_b32_e64 v9, v9, v71, s16
	s_waitcnt vmcnt(4)
	v_mov_b32_e32 v66, v30
	s_clause 0xf
	scratch_load_b128 v[17:20], off, off offset:1648
	scratch_load_b128 v[21:24], off, off offset:1664
	;; [unrolled: 1-line block ×16, first 2 shown]
	s_waitcnt vmcnt(12)
	v_mov_b32_e32 v67, v29
	s_clause 0x7
	scratch_load_b128 v[17:20], off, off offset:1776
	scratch_load_b128 v[21:24], off, off offset:1792
	;; [unrolled: 1-line block ×8, first 2 shown]
	v_cndmask_b32_e64 v8, v8, v66, s17
	v_cndmask_b32_e64 v9, v9, v67, s17
	s_waitcnt vmcnt(12)
	s_delay_alu instid0(VALU_DEP_2)
	v_cndmask_b32_e64 v8, v8, v49, s18
	s_waitcnt vmcnt(4)
	v_mov_b32_e32 v50, v31
	s_clause 0x7
	scratch_load_b128 v[17:20], off, off offset:1008
	scratch_load_b128 v[21:24], off, off offset:1024
	;; [unrolled: 1-line block ×8, first 2 shown]
	v_cndmask_b32_e64 v0, v9, v50, s18
	s_waitcnt vmcnt(3)
	v_cndmask_b32_e64 v1, v8, v34, s19
	s_clause 0x7
	scratch_load_b128 v[2:5], off, off offset:1904
	scratch_load_b128 v[6:9], off, off offset:1920
	;; [unrolled: 1-line block ×8, first 2 shown]
	s_waitcnt vmcnt(5)
	v_cndmask_b32_e64 v10, v110, v105, s2
	v_cndmask_b32_e64 v13, v109, v104, s2
	s_waitcnt vmcnt(3)
	v_cndmask_b32_e64 v21, v94, v107, s2
	s_delay_alu instid0(VALU_DEP_3) | instskip(NEXT) | instid1(VALU_DEP_3)
	v_cndmask_b32_e64 v10, v10, v83, s3
	v_cndmask_b32_e64 v13, v13, v82, s3
	s_delay_alu instid0(VALU_DEP_2) | instskip(NEXT) | instid1(VALU_DEP_2)
	v_cndmask_b32_e64 v10, v10, v69, s4
	v_cndmask_b32_e64 v13, v13, v68, s4
	s_delay_alu instid0(VALU_DEP_2) | instskip(NEXT) | instid1(VALU_DEP_2)
	;; [unrolled: 3-line block ×6, first 2 shown]
	v_cndmask_b32_e64 v14, v10, v34, s9
	v_cndmask_b32_e64 v13, v13, v18, s9
	;; [unrolled: 1-line block ×3, first 2 shown]
	s_delay_alu instid0(VALU_DEP_2) | instskip(NEXT) | instid1(VALU_DEP_1)
	v_mul_f64 v[13:14], v[13:14], v[80:81]
	v_fma_f64 v[99:100], v[0:1], v[154:155], v[13:14]
	v_cndmask_b32_e64 v14, v95, v108, s2
	s_delay_alu instid0(VALU_DEP_2) | instskip(NEXT) | instid1(VALU_DEP_3)
	v_cndmask_b32_e32 v129, v34, v100, vcc_lo
	v_cndmask_b32_e64 v147, v50, v99, s20
	v_cndmask_b32_e64 v128, v49, v100, s20
	s_clause 0x7
	scratch_load_b128 v[27:30], off, off offset:112
	scratch_load_b128 v[31:34], off, off offset:128
	;; [unrolled: 1-line block ×8, first 2 shown]
	v_mov_b32_e32 v92, v111
	v_cndmask_b32_e64 v148, v67, v99, s21
	v_cndmask_b32_e64 v149, v71, v99, s22
	;; [unrolled: 1-line block ×6, first 2 shown]
	v_dual_cndmask_b32 v146, v18, v99 :: v_dual_mov_b32 v93, v112
	v_cndmask_b32_e64 v106, v150, v99, s14
	v_cndmask_b32_e64 v122, v151, v100, s14
	s_delay_alu instid0(VALU_DEP_3) | instskip(SKIP_4) | instid1(VALU_DEP_3)
	v_cndmask_b32_e64 v14, v14, v93, s3
	s_waitcnt vmcnt(6)
	v_mov_b32_e32 v89, v34
	v_cndmask_b32_e64 v21, v21, v92, s3
	v_mov_b32_e32 v88, v33
	v_cndmask_b32_e64 v14, v14, v89, s4
	s_waitcnt vmcnt(1)
	s_delay_alu instid0(VALU_DEP_2)
	v_cndmask_b32_e64 v53, v21, v88, s4
	s_clause 0x7
	scratch_load_b128 v[21:24], off, off offset:240
	scratch_load_b128 v[25:28], off, off offset:256
	;; [unrolled: 1-line block ×8, first 2 shown]
	s_waitcnt vmcnt(5)
	v_dual_mov_b32 v91, v30 :: v_dual_mov_b32 v90, v29
	s_delay_alu instid0(VALU_DEP_1) | instskip(NEXT) | instid1(VALU_DEP_2)
	v_cndmask_b32_e64 v14, v14, v91, s5
	v_cndmask_b32_e64 v21, v53, v90, s5
	s_clause 0x7
	scratch_load_b128 v[22:25], off, off offset:2416
	scratch_load_b128 v[26:29], off, off offset:2432
	;; [unrolled: 1-line block ×8, first 2 shown]
	s_waitcnt vmcnt(5)
	v_mov_b32_e32 v79, v33
	s_clause 0x7
	scratch_load_b128 v[22:25], off, off offset:2800
	scratch_load_b128 v[26:29], off, off offset:2816
	;; [unrolled: 1-line block ×8, first 2 shown]
	s_waitcnt vmcnt(5)
	v_mov_b32_e32 v96, v32
	s_clause 0xf
	scratch_load_b128 v[22:25], off, off offset:2288
	scratch_load_b128 v[26:29], off, off offset:2304
	;; [unrolled: 1-line block ×16, first 2 shown]
	v_cndmask_b32_e64 v14, v14, v79, s6
	v_cndmask_b32_e64 v21, v21, v96, s6
	s_waitcnt vmcnt(12)
	v_mov_b32_e32 v85, v35
	s_waitcnt vmcnt(4)
	s_delay_alu instid0(VALU_DEP_2)
	v_cndmask_b32_e64 v0, v21, v59, s7
	s_clause 0x7
	scratch_load_b128 v[21:24], off, off offset:2160
	scratch_load_b128 v[25:28], off, off offset:2176
	;; [unrolled: 1-line block ×8, first 2 shown]
	v_cndmask_b32_e64 v14, v14, v85, s7
	s_waitcnt vmcnt(4)
	s_delay_alu instid0(VALU_DEP_1)
	v_cndmask_b32_e64 v34, v14, v36, s8
	s_clause 0x7
	scratch_load_b128 v[1:4], off, off offset:2544
	scratch_load_b128 v[5:8], off, off offset:2560
	;; [unrolled: 1-line block ×8, first 2 shown]
	s_waitcnt vmcnt(4)
	v_mov_b32_e32 v37, v15
	s_delay_alu instid0(VALU_DEP_1)
	v_cndmask_b32_e64 v35, v0, v37, s8
	s_clause 0x7
	scratch_load_b128 v[0:3], off, off offset:752
	scratch_load_b128 v[4:7], off, off offset:768
	;; [unrolled: 1-line block ×8, first 2 shown]
	s_waitcnt vmcnt(3)
	v_mov_b32_e32 v32, v17
	s_clause 0x7
	scratch_load_b128 v[0:3], off, off offset:880
	scratch_load_b128 v[4:7], off, off offset:896
	;; [unrolled: 1-line block ×8, first 2 shown]
	s_waitcnt vmcnt(4)
	v_cndmask_b32_e64 v14, v95, v108, s11
	s_waitcnt vmcnt(2)
	v_cndmask_b32_e64 v23, v94, v107, s11
	v_cndmask_b32_e64 v34, v34, v32, s9
	s_delay_alu instid0(VALU_DEP_3) | instskip(NEXT) | instid1(VALU_DEP_3)
	v_cndmask_b32_e64 v14, v14, v93, s12
	v_cndmask_b32_e64 v23, v23, v92, s12
	s_delay_alu instid0(VALU_DEP_2) | instskip(NEXT) | instid1(VALU_DEP_2)
	v_cndmask_b32_e64 v14, v14, v89, s13
	v_cndmask_b32_e64 v23, v23, v88, s13
	s_delay_alu instid0(VALU_DEP_2) | instskip(NEXT) | instid1(VALU_DEP_2)
	;; [unrolled: 3-line block ×5, first 2 shown]
	v_cndmask_b32_e64 v14, v14, v36, s18
	v_cndmask_b32_e64 v23, v23, v37, s18
	s_waitcnt vmcnt(1)
	s_delay_alu instid0(VALU_DEP_2) | instskip(SKIP_1) | instid1(VALU_DEP_1)
	v_cndmask_b32_e64 v24, v14, v32, s19
	v_cndmask_b32_e64 v14, v252, v254, s2
	;; [unrolled: 1-line block ×3, first 2 shown]
	s_delay_alu instid0(VALU_DEP_1) | instskip(NEXT) | instid1(VALU_DEP_1)
	v_cndmask_b32_e64 v14, v14, v176, s4
	v_cndmask_b32_e64 v14, v14, v136, s5
	;; [unrolled: 1-line block ×4, first 2 shown]
	s_delay_alu instid0(VALU_DEP_2) | instskip(SKIP_2) | instid1(VALU_DEP_2)
	v_mul_f64 v[21:22], v[33:34], v[80:81]
	v_cndmask_b32_e64 v33, v251, v253, s2
	v_cmp_eq_u32_e64 s2, 6, v144
	v_cndmask_b32_e64 v33, v33, v245, s3
	v_cmp_eq_u32_e64 s3, 5, v144
	s_delay_alu instid0(VALU_DEP_2) | instskip(SKIP_1) | instid1(VALU_DEP_2)
	v_cndmask_b32_e64 v33, v33, v175, s4
	v_cmp_eq_u32_e64 s4, 4, v144
	v_cndmask_b32_e64 v33, v33, v135, s5
	v_cmp_eq_u32_e64 s5, 7, v144
	v_fma_f64 v[70:71], v[23:24], v[154:155], v[21:22]
	s_delay_alu instid0(VALU_DEP_1) | instskip(SKIP_1) | instid1(VALU_DEP_3)
	v_cndmask_b32_e64 v132, v37, v70, s20
	v_cndmask_b32_e64 v131, v59, v70, s21
	;; [unrolled: 1-line block ×3, first 2 shown]
	s_clause 0x7
	scratch_load_b128 v[34:37], off, off offset:3824
	scratch_load_b128 v[38:41], off, off offset:3840
	;; [unrolled: 1-line block ×8, first 2 shown]
	v_cndmask_b32_e64 v137, v85, v71, s21
	v_cndmask_b32_e32 v133, v16, v70, vcc_lo
	v_cndmask_b32_e32 v139, v32, v71, vcc_lo
	v_cndmask_b32_e64 v130, v96, v70, s22
	v_mov_b32_e32 v96, v169
	v_cndmask_b32_e64 v134, v79, v71, s22
	v_cndmask_b32_e64 v111, v90, v70, s14
	;; [unrolled: 1-line block ×3, first 2 shown]
	v_mov_b32_e32 v90, v109
	v_cndmask_b32_e64 v112, v88, v70, s10
	v_cndmask_b32_e64 v118, v89, v71, s10
	s_waitcnt vmcnt(5)
	v_mov_b32_e32 v67, v45
	s_clause 0x7
	scratch_load_b128 v[34:37], off, off offset:624
	scratch_load_b128 v[38:41], off, off offset:640
	;; [unrolled: 1-line block ×8, first 2 shown]
	s_waitcnt vmcnt(5)
	v_mov_b32_e32 v85, v44
	s_clause 0x7
	scratch_load_b128 v[35:38], off, off offset:3696
	scratch_load_b128 v[39:42], off, off offset:3712
	;; [unrolled: 1-line block ×8, first 2 shown]
	v_cndmask_b32_e64 v33, v33, v85, s6
	s_waitcnt vmcnt(3)
	v_mov_b32_e32 v54, v48
	v_cndmask_b32_e64 v14, v14, v67, s6
	v_cmp_eq_u32_e64 s6, 8, v144
	s_delay_alu instid0(VALU_DEP_2)
	v_cndmask_b32_e64 v46, v14, v54, s7
	s_clause 0x7
	scratch_load_b128 v[0:3], off, off offset:496
	scratch_load_b128 v[4:7], off, off offset:512
	;; [unrolled: 1-line block ×8, first 2 shown]
	s_waitcnt vmcnt(4)
	v_mov_b32_e32 v56, v12
	s_delay_alu instid0(VALU_DEP_1)
	v_cndmask_b32_e64 v0, v33, v56, s7
	s_clause 0x7
	scratch_load_b128 v[14:17], off, off offset:3568
	scratch_load_b128 v[18:21], off, off offset:3584
	;; [unrolled: 1-line block ×8, first 2 shown]
	v_cmp_eq_u32_e64 s7, 3, v144
	s_waitcnt vmcnt(4)
	v_mov_b32_e32 v55, v29
	s_delay_alu instid0(VALU_DEP_1)
	v_cndmask_b32_e64 v14, v46, v55, s8
	s_clause 0x7
	scratch_load_b128 v[22:25], off, off offset:368
	scratch_load_b128 v[26:29], off, off offset:384
	;; [unrolled: 1-line block ×8, first 2 shown]
	s_waitcnt vmcnt(1)
	v_mul_f64 v[45:46], v[102:103], v[80:81]
	v_cndmask_b32_e64 v35, v251, v253, s11
	v_cndmask_b32_e64 v34, v14, v96, s9
	s_delay_alu instid0(VALU_DEP_2) | instskip(NEXT) | instid1(VALU_DEP_1)
	v_cndmask_b32_e64 v35, v35, v245, s12
	v_cndmask_b32_e64 v35, v35, v175, s13
	s_delay_alu instid0(VALU_DEP_1) | instskip(SKIP_1) | instid1(VALU_DEP_1)
	v_cndmask_b32_e64 v35, v35, v135, s15
	v_fma_f64 v[63:64], v[152:153], v[154:155], v[45:46]
	v_cndmask_b32_e32 v48, v201, v63, vcc_lo
	s_delay_alu instid0(VALU_DEP_3)
	v_cndmask_b32_e64 v35, v35, v85, s16
	v_cndmask_b32_e64 v47, v158, v63, s20
	;; [unrolled: 1-line block ×6, first 2 shown]
	v_cndmask_b32_e32 v58, v86, v64, vcc_lo
	s_waitcnt vmcnt(0)
	v_cndmask_b32_e64 v50, v125, v63, s14
	v_cndmask_b32_e64 v51, v126, v64, s14
	;; [unrolled: 1-line block ×5, first 2 shown]
	s_clause 0x7
	scratch_load_b128 v[0:3], off, off offset:3952
	scratch_load_b128 v[4:7], off, off offset:3968
	;; [unrolled: 1-line block ×8, first 2 shown]
	s_waitcnt vmcnt(4)
	v_cndmask_b32_e64 v14, v252, v254, s11
	v_cndmask_b32_e64 v35, v35, v36, s18
	v_cmp_eq_u32_e64 s11, 6, v84
	v_cmp_eq_u32_e64 s8, 8, v84
	s_delay_alu instid0(VALU_DEP_4) | instskip(SKIP_1) | instid1(VALU_DEP_2)
	v_cndmask_b32_e64 v14, v14, v246, s12
	v_cmp_eq_u32_e64 s12, 1, v84
	v_cndmask_b32_e64 v14, v14, v176, s13
	v_cmp_eq_u32_e64 s13, 5, v84
	s_delay_alu instid0(VALU_DEP_2) | instskip(SKIP_1) | instid1(VALU_DEP_2)
	v_cndmask_b32_e64 v14, v14, v136, s15
	v_cmp_eq_u32_e64 s15, 4, v84
	v_cndmask_b32_e64 v14, v14, v67, s16
	v_cmp_eq_u32_e64 s16, 2, v84
	s_delay_alu instid0(VALU_DEP_2) | instskip(SKIP_1) | instid1(VALU_DEP_2)
	v_cndmask_b32_e64 v14, v14, v54, s17
	v_cmp_eq_u32_e64 s17, 3, v84
	v_cndmask_b32_e64 v14, v14, v55, s18
	v_cmp_eq_u32_e64 s18, 2, v144
	s_delay_alu instid0(VALU_DEP_2)
	v_cndmask_b32_e64 v39, v14, v96, s19
	s_waitcnt vmcnt(3)
	v_cndmask_b32_e64 v33, v33, v16, s9
	v_cndmask_b32_e64 v38, v35, v16, s19
	v_cmp_eq_u32_e64 s19, 1, v144
	v_cmp_eq_u32_e64 s9, 7, v84
	s_delay_alu instid0(VALU_DEP_4) | instskip(NEXT) | instid1(VALU_DEP_1)
	v_mul_f64 v[33:34], v[33:34], v[80:81]
	v_fma_f64 v[72:73], v[38:39], v[154:155], v[33:34]
	s_delay_alu instid0(VALU_DEP_1) | instskip(SKIP_2) | instid1(VALU_DEP_4)
	v_dual_mov_b32 v91, v110 :: v_dual_cndmask_b32 v38, v16, v72
	v_cndmask_b32_e64 v35, v36, v72, s20
	v_cndmask_b32_e64 v34, v56, v72, s21
	;; [unrolled: 1-line block ×5, first 2 shown]
	v_cmp_eq_u32_e64 s20, 1, v114
	v_cmp_eq_u32_e64 s21, 0, v114
	v_cndmask_b32_e64 v33, v85, v72, s22
	v_cndmask_b32_e64 v39, v67, v73, s22
	;; [unrolled: 1-line block ×3, first 2 shown]
	v_cmp_eq_u32_e64 s22, 2, v114
	v_cndmask_b32_e64 v59, v166, v63, s20
	v_cndmask_b32_e64 v62, v167, v64, s20
	;; [unrolled: 1-line block ×11, first 2 shown]
	v_cndmask_b32_e32 v44, v96, v73, vcc_lo
	v_cndmask_b32_e64 v68, v68, v64, s16
	v_cndmask_b32_e64 v74, v74, v63, s16
	;; [unrolled: 1-line block ×9, first 2 shown]
	v_mov_b32_e32 v90, v105
	v_cndmask_b32_e64 v68, v68, v51, s15
	v_cndmask_b32_e64 v74, v74, v50, s15
	v_cndmask_b32_e64 v75, v75, v51, s4
	v_cndmask_b32_e64 v76, v76, v50, s4
	v_cndmask_b32_e64 v66, v104, v99, s20
	v_cndmask_b32_e64 v68, v68, v55, s13
	v_cndmask_b32_e64 v74, v74, v45, s13
	v_cndmask_b32_e64 v75, v75, v55, s3
	v_cndmask_b32_e64 v76, v76, v45, s3
	v_cndmask_b32_e64 v7, v65, v66, s19
	v_cndmask_b32_e64 v68, v68, v56, s11
	v_cndmask_b32_e64 v74, v74, v46, s11
	v_cndmask_b32_e64 v75, v75, v56, s2
	v_cndmask_b32_e64 v76, v76, v46, s2
	v_cndmask_b32_e64 v17, v65, v66, s12
	v_cndmask_b32_e64 v68, v68, v57, s9
	v_cndmask_b32_e64 v74, v74, v47, s9
	v_cndmask_b32_e64 v77, v75, v57, s5
	v_cndmask_b32_e64 v4, v76, v47, s5
	v_cndmask_b32_e64 v102, v7, v67, s18
	v_cndmask_b32_e64 v75, v68, v58, s8
	v_cndmask_b32_e64 v74, v74, v48, s8
	v_cndmask_b32_e64 v77, v77, v58, s6
	v_cndmask_b32_e64 v76, v4, v48, s6
	v_mov_b32_e32 v68, v83
	v_cndmask_b32_e64 v17, v17, v67, s16
	v_add_f64 v[78:79], -v[74:75], 0
	s_waitcnt vmcnt(0)
	v_cndmask_b32_e64 v29, v254, v73, s20
	v_add_f64 v[80:81], v[76:77], -v[74:75]
	v_cndmask_b32_e64 v32, v252, v73, s21
	v_cndmask_b32_e64 v17, v17, v121, s17
	;; [unrolled: 1-line block ×3, first 2 shown]
	s_delay_alu instid0(VALU_DEP_3) | instskip(NEXT) | instid1(VALU_DEP_3)
	v_cndmask_b32_e64 v99, v32, v29, s12
	v_cndmask_b32_e64 v17, v17, v106, s15
	s_delay_alu instid0(VALU_DEP_1) | instskip(NEXT) | instid1(VALU_DEP_1)
	v_cndmask_b32_e64 v17, v17, v149, s13
	v_cndmask_b32_e64 v17, v17, v148, s11
	v_div_scale_f64 v[82:83], null, v[80:81], v[80:81], v[78:79]
	v_div_scale_f64 v[88:89], vcc_lo, v[78:79], v[80:81], v[78:79]
	s_delay_alu instid0(VALU_DEP_2) | instskip(SKIP_2) | instid1(VALU_DEP_1)
	v_rcp_f64_e32 v[84:85], v[82:83]
	s_waitcnt_depctr 0xfff
	v_fma_f64 v[86:87], -v[82:83], v[84:85], 1.0
	v_fma_f64 v[84:85], v[84:85], v[86:87], v[84:85]
	s_delay_alu instid0(VALU_DEP_1) | instskip(NEXT) | instid1(VALU_DEP_1)
	v_fma_f64 v[86:87], -v[82:83], v[84:85], 1.0
	v_fma_f64 v[84:85], v[84:85], v[86:87], v[84:85]
	s_delay_alu instid0(VALU_DEP_1) | instskip(NEXT) | instid1(VALU_DEP_1)
	v_mul_f64 v[86:87], v[88:89], v[84:85]
	v_fma_f64 v[82:83], -v[82:83], v[86:87], v[88:89]
	v_cndmask_b32_e64 v89, v108, v71, s20
	v_cndmask_b32_e64 v88, v93, v71, s22
	;; [unrolled: 1-line block ×3, first 2 shown]
	s_delay_alu instid0(VALU_DEP_4)
	v_div_fmas_f64 v[82:83], v[82:83], v[84:85], v[86:87]
	v_cndmask_b32_e64 v84, v91, v100, s21
	v_cndmask_b32_e64 v86, v107, v70, s20
	;; [unrolled: 1-line block ×8, first 2 shown]
	s_delay_alu instid0(VALU_DEP_1) | instskip(NEXT) | instid1(VALU_DEP_1)
	v_cndmask_b32_e64 v103, v69, v85, s18
	v_cndmask_b32_e64 v103, v103, v112, s7
	v_div_fixup_f64 v[78:79], v[82:83], v[80:81], v[78:79]
	v_cndmask_b32_e64 v83, v90, v100, s20
	v_cndmask_b32_e64 v82, v68, v100, s22
	;; [unrolled: 1-line block ×37, first 2 shown]
	v_add_f64 v[6:7], -v[78:79], 1.0
	v_cndmask_b32_e64 v70, v70, v131, s11
	v_cndmask_b32_e64 v73, v73, v95, s17
	v_cndmask_b32_e64 v99, v99, v91, s17
	v_cndmask_b32_e64 v68, v68, v88, s18
	v_cndmask_b32_e64 v17, v16, v129, s8
	v_cndmask_b32_e64 v16, v102, v146, s8
	v_cndmask_b32_e64 v69, v69, v138, s9
	v_cndmask_b32_e64 v70, v70, v132, s9
	v_cndmask_b32_e64 v73, v73, v81, s15
	v_cndmask_b32_e64 v99, v99, v80, s15
	v_cndmask_b32_e64 v102, v68, v118, s7
	v_cndmask_b32_e64 v69, v69, v139, s8
	v_cndmask_b32_e64 v68, v70, v133, s8
	v_cndmask_b32_e64 v73, v73, v39, s13
	v_cndmask_b32_e64 v99, v99, v33, s13
	v_cndmask_b32_e64 v104, v71, v95, s7
	v_cndmask_b32_e64 v72, v72, v91, s7
	s_delay_alu instid0(VALU_DEP_4) | instskip(NEXT) | instid1(VALU_DEP_4)
	v_cndmask_b32_e64 v73, v73, v42, s11
	v_cndmask_b32_e64 v99, v99, v34, s11
	s_delay_alu instid0(VALU_DEP_2) | instskip(NEXT) | instid1(VALU_DEP_2)
	v_cndmask_b32_e64 v70, v73, v43, s9
	v_cndmask_b32_e64 v73, v99, v35, s9
	;; [unrolled: 1-line block ×14, first 2 shown]
	v_mul_f64 v[16:17], v[16:17], v[6:7]
	v_mul_f64 v[68:69], v[68:69], v[6:7]
	v_cndmask_b32_e64 v100, v100, v148, s2
	v_mul_f64 v[70:71], v[70:71], v[6:7]
	v_cndmask_b32_e64 v99, v99, v128, s5
	v_cndmask_b32_e64 v101, v73, v137, s2
	v_mul_f64 v[6:7], v[74:75], v[6:7]
	v_cndmask_b32_e64 v100, v100, v147, s5
	v_cndmask_b32_e64 v74, v72, v131, s2
	;; [unrolled: 1-line block ×10, first 2 shown]
	s_delay_alu instid0(VALU_DEP_2) | instskip(SKIP_3) | instid1(VALU_DEP_4)
	v_cndmask_b32_e64 v75, v75, v42, s2
	v_fma_f64 v[72:73], v[72:73], v[78:79], v[16:17]
	v_cndmask_b32_e64 v17, v100, v139, s6
	v_cndmask_b32_e64 v16, v74, v133, s6
	;; [unrolled: 1-line block ×4, first 2 shown]
	v_mov_b32_e32 v99, v97
	s_delay_alu instid0(VALU_DEP_4) | instskip(SKIP_4) | instid1(VALU_DEP_4)
	v_fma_f64 v[68:69], v[16:17], v[78:79], v[68:69]
	v_lshlrev_b32_e32 v14, 2, v114
	v_cndmask_b32_e64 v17, v74, v44, s6
	v_cndmask_b32_e64 v16, v75, v38, s6
	v_fma_f64 v[74:75], v[76:77], v[78:79], v[6:7]
	v_add3_u32 v14, 16, v14, 40
	s_delay_alu instid0(VALU_DEP_3)
	v_fma_f64 v[70:71], v[16:17], v[78:79], v[70:71]
	scratch_load_b32 v14, v14, off
	s_waitcnt vmcnt(0)
	v_cmp_eq_u32_e64 s4, 1, v14
	v_cmp_eq_u32_e64 s5, 0, v14
	v_cmp_eq_u32_e32 vcc_lo, 3, v14
	v_cmp_eq_u32_e64 s2, 4, v14
	v_cmp_eq_u32_e64 s3, 2, v14
	v_cndmask_b32_e64 v108, v89, v69, s4
	v_cndmask_b32_e64 v90, v90, v69, s5
	;; [unrolled: 1-line block ×3, first 2 shown]
	v_dual_cndmask_b32 v7, v123, v73 :: v_dual_lshlrev_b32 v4, 2, v14
	v_dual_cndmask_b32 v6, v121, v72 :: v_dual_cndmask_b32 v175, v91, v70
	v_cndmask_b32_e64 v151, v122, v73, s2
	s_delay_alu instid0(VALU_DEP_3)
	v_add3_u32 v4, 16, v4, 40
	v_cndmask_b32_e64 v150, v106, v72, s2
	v_cndmask_b32_e64 v136, v81, v71, s2
	;; [unrolled: 1-line block ×4, first 2 shown]
	scratch_load_b32 v4, v4, off
	v_cndmask_b32_e64 v125, v50, v74, s2
	v_cndmask_b32_e64 v77, v88, v69, s3
	v_cndmask_b32_e64 v105, v83, v73, s4
	v_cndmask_b32_e64 v104, v66, v72, s4
	v_cndmask_b32_e64 v76, v85, v68, s3
	v_cndmask_b32_e64 v107, v86, v68, s4
	v_cndmask_b32_e32 v176, v95, v71, vcc_lo
	v_cndmask_b32_e64 v246, v96, v71, s3
	v_cndmask_b32_e64 v245, v92, v70, s3
	;; [unrolled: 1-line block ×10, first 2 shown]
	s_waitcnt vmcnt(0)
	s_clause 0x8
	scratch_store_b32 off, v4, off offset:100
	scratch_store_b128 off, v[0:3], off offset:2032
	scratch_store_b128 off, v[4:7], off offset:2048
	scratch_store_b128 off, v[8:11], off offset:2064
	scratch_store_b128 off, v[12:15], off offset:2080
	scratch_store_b128 off, v[16:19], off offset:2096
	scratch_store_b128 off, v[20:23], off offset:2112
	scratch_store_b128 off, v[24:27], off offset:2128
	scratch_store_b128 off, v[28:31], off offset:2144
	v_cndmask_b32_e64 v31, v84, v73, s5
	v_cndmask_b32_e64 v30, v65, v72, s5
	;; [unrolled: 1-line block ×6, first 2 shown]
	s_clause 0x7
	scratch_store_b128 off, v[8:11], off offset:240
	scratch_store_b128 off, v[12:15], off offset:256
	;; [unrolled: 1-line block ×8, first 2 shown]
	v_dual_cndmask_b32 v17, v118, v69 :: v_dual_cndmask_b32 v16, v112, v68
	v_mov_b32_e32 v101, v7
	s_clause 0x7
	scratch_store_b128 off, v[10:13], off offset:112
	scratch_store_b128 off, v[14:17], off offset:128
	;; [unrolled: 1-line block ×8, first 2 shown]
	v_dual_mov_b32 v112, v77 :: v_dual_mov_b32 v111, v76
	v_cndmask_b32_e32 v115, v40, v74, vcc_lo
	v_cmp_eq_u32_e64 s2, 8, v14
	v_cndmask_b32_e64 v254, v29, v71, s4
	v_dual_mov_b32 v29, v114 :: v_dual_cndmask_b32 v116, v41, v75
	v_cmp_eq_u32_e32 vcc_lo, 7, v14
	s_delay_alu instid0(VALU_DEP_4)
	v_cndmask_b32_e64 v17, v129, v73, s2
	v_mov_b32_e32 v100, v6
	v_cmp_eq_u32_e64 s3, 6, v14
	v_cmp_eq_u32_e64 s4, 5, v14
	s_clause 0x7
	scratch_store_b128 off, v[0:3], off offset:1008
	scratch_store_b128 off, v[4:7], off offset:1024
	scratch_store_b128 off, v[8:11], off offset:1040
	scratch_store_b128 off, v[12:15], off offset:1056
	scratch_store_b128 off, v[16:19], off offset:1072
	scratch_store_b128 off, v[20:23], off offset:1088
	scratch_store_b128 off, v[24:27], off offset:1104
	scratch_store_b128 off, v[28:31], off offset:1120
	v_cndmask_b32_e64 v16, v146, v72, s2
	v_mov_b32_e32 v118, v90
	v_cndmask_b32_e64 v252, v32, v71, s5
	v_cndmask_b32_e64 v169, v44, v71, s2
	;; [unrolled: 1-line block ×4, first 2 shown]
	v_mov_b32_e32 v117, v89
	v_cndmask_b32_e64 v223, v45, v74, s4
	s_clause 0x7
	scratch_store_b128 off, v[0:3], off offset:1904
	scratch_store_b128 off, v[4:7], off offset:1920
	;; [unrolled: 1-line block ×8, first 2 shown]
	v_cndmask_b32_e32 v15, v128, v73, vcc_lo
	s_clause 0x7
	scratch_store_b128 off, v[0:3], off offset:1136
	scratch_store_b128 off, v[4:7], off offset:1152
	;; [unrolled: 1-line block ×8, first 2 shown]
	v_cndmask_b32_e32 v15, v147, v72, vcc_lo
	s_clause 0x7
	scratch_store_b128 off, v[1:4], off offset:1776
	scratch_store_b128 off, v[5:8], off offset:1792
	scratch_store_b128 off, v[9:12], off offset:1808
	scratch_store_b128 off, v[13:16], off offset:1824
	scratch_store_b128 off, v[17:20], off offset:1840
	scratch_store_b128 off, v[21:24], off offset:1856
	scratch_store_b128 off, v[25:28], off offset:1872
	scratch_store_b128 off, v[29:32], off offset:1888
	v_cndmask_b32_e64 v13, v127, v73, s3
	s_clause 0x7
	scratch_store_b128 off, v[0:3], off offset:1264
	scratch_store_b128 off, v[4:7], off offset:1280
	scratch_store_b128 off, v[8:11], off offset:1296
	scratch_store_b128 off, v[12:15], off offset:1312
	scratch_store_b128 off, v[16:19], off offset:1328
	scratch_store_b128 off, v[20:23], off offset:1344
	scratch_store_b128 off, v[24:27], off offset:1360
	scratch_store_b128 off, v[28:31], off offset:1376
	v_cndmask_b32_e64 v12, v148, v72, s3
	;; [unrolled: 10-line block ×6, first 2 shown]
	s_clause 0x7
	scratch_store_b128 off, v[0:3], off offset:880
	scratch_store_b128 off, v[4:7], off offset:896
	;; [unrolled: 1-line block ×8, first 2 shown]
	v_cndmask_b32_e32 v15, v138, v69, vcc_lo
	s_clause 0x7
	scratch_store_b128 off, v[0:3], off offset:2160
	scratch_store_b128 off, v[4:7], off offset:2176
	;; [unrolled: 1-line block ×8, first 2 shown]
	v_cndmask_b32_e32 v15, v132, v68, vcc_lo
	s_clause 0x7
	scratch_store_b128 off, v[1:4], off offset:2544
	scratch_store_b128 off, v[5:8], off offset:2560
	scratch_store_b128 off, v[9:12], off offset:2576
	scratch_store_b128 off, v[13:16], off offset:2592
	scratch_store_b128 off, v[17:20], off offset:2608
	scratch_store_b128 off, v[21:24], off offset:2624
	scratch_store_b128 off, v[25:28], off offset:2640
	scratch_store_b128 off, v[29:32], off offset:2656
	v_cndmask_b32_e64 v13, v137, v69, s3
	s_clause 0x7
	scratch_store_b128 off, v[0:3], off offset:2288
	scratch_store_b128 off, v[4:7], off offset:2304
	scratch_store_b128 off, v[8:11], off offset:2320
	scratch_store_b128 off, v[12:15], off offset:2336
	scratch_store_b128 off, v[16:19], off offset:2352
	scratch_store_b128 off, v[20:23], off offset:2368
	scratch_store_b128 off, v[24:27], off offset:2384
	scratch_store_b128 off, v[28:31], off offset:2400
	v_cndmask_b32_e64 v12, v131, v68, s3
	;; [unrolled: 10-line block ×5, first 2 shown]
	s_movk_i32 s2, 0xff0
	s_clause 0x7
	scratch_store_b128 off, v[0:3], off offset:3952
	scratch_store_b128 off, v[4:7], off offset:3968
	;; [unrolled: 1-line block ×8, first 2 shown]
	v_cndmask_b32_e32 v15, v43, v71, vcc_lo
	s_clause 0x7
	scratch_store_b128 off, v[0:3], off offset:3568
	scratch_store_b128 off, v[4:7], off offset:3584
	;; [unrolled: 1-line block ×8, first 2 shown]
	v_cndmask_b32_e32 v15, v35, v70, vcc_lo
	s_clause 0x7
	scratch_store_b128 off, v[1:4], off offset:368
	scratch_store_b128 off, v[5:8], off offset:384
	scratch_store_b128 off, v[9:12], off offset:400
	scratch_store_b128 off, v[13:16], off offset:416
	scratch_store_b128 off, v[17:20], off offset:432
	scratch_store_b128 off, v[21:24], off offset:448
	scratch_store_b128 off, v[25:28], off offset:464
	scratch_store_b128 off, v[29:32], off offset:480
	v_cndmask_b32_e64 v13, v42, v71, s3
	s_clause 0x7
	scratch_store_b128 off, v[0:3], off offset:3696
	scratch_store_b128 off, v[4:7], off offset:3712
	scratch_store_b128 off, v[8:11], off offset:3728
	scratch_store_b128 off, v[12:15], off offset:3744
	scratch_store_b128 off, v[16:19], off offset:3760
	scratch_store_b128 off, v[20:23], off offset:3776
	scratch_store_b128 off, v[24:27], off offset:3792
	scratch_store_b128 off, v[28:31], off offset:3808
	v_cndmask_b32_e64 v12, v34, v70, s3
	;; [unrolled: 10-line block ×4, first 2 shown]
	s_clause 0x7
	scratch_store_b128 off, v[0:3], off offset:624
	scratch_store_b128 off, v[4:7], off offset:640
	;; [unrolled: 1-line block ×8, first 2 shown]
	v_cndmask_b32_e32 v15, v57, v75, vcc_lo
	s_clause 0x7
	scratch_store_b128 off, v[0:3], s2
	scratch_store_b128 off, v[4:7], s2 offset:16
	scratch_store_b128 off, v[8:11], s2 offset:32
	;; [unrolled: 1-line block ×7, first 2 shown]
	v_cndmask_b32_e32 v15, v47, v74, vcc_lo
	s_clause 0x7
	scratch_store_b128 off, v[1:4], off offset:3184
	scratch_store_b128 off, v[5:8], off offset:3200
	scratch_store_b128 off, v[9:12], off offset:3216
	scratch_store_b128 off, v[13:16], off offset:3232
	scratch_store_b128 off, v[17:20], off offset:3248
	scratch_store_b128 off, v[21:24], off offset:3264
	scratch_store_b128 off, v[25:28], off offset:3280
	scratch_store_b128 off, v[29:32], off offset:3296
	v_cndmask_b32_e64 v13, v56, v75, s3
	s_clause 0x7
	scratch_store_b128 off, v[0:3], off offset:2928
	scratch_store_b128 off, v[4:7], off offset:2944
	scratch_store_b128 off, v[8:11], off offset:2960
	scratch_store_b128 off, v[12:15], off offset:2976
	scratch_store_b128 off, v[16:19], off offset:2992
	scratch_store_b128 off, v[20:23], off offset:3008
	scratch_store_b128 off, v[24:27], off offset:3024
	scratch_store_b128 off, v[28:31], off offset:3040
	v_cndmask_b32_e64 v12, v46, v74, s3
	s_clause 0x7
	scratch_store_b128 off, v[0:3], off offset:3312
	scratch_store_b128 off, v[4:7], off offset:3328
	scratch_store_b128 off, v[8:11], off offset:3344
	scratch_store_b128 off, v[12:15], off offset:3360
	scratch_store_b128 off, v[16:19], off offset:3376
	scratch_store_b128 off, v[20:23], off offset:3392
	scratch_store_b128 off, v[24:27], off offset:3408
	scratch_store_b128 off, v[28:31], off offset:3424
	v_cndmask_b32_e64 v11, v55, v75, s4
	s_clause 0x7
	scratch_store_b128 off, v[0:3], off offset:3056
	scratch_store_b128 off, v[4:7], off offset:3072
	;; [unrolled: 1-line block ×8, first 2 shown]
	v_dual_mov_b32 v110, v31 :: v_dual_mov_b32 v109, v30
.LBB4_80:
	s_or_b32 exec_lo, exec_lo, s26
	s_mov_b32 s2, 0
	scratch_store_b32 off, v145, off offset:96
	s_mov_b32 s4, exec_lo
	s_movk_i32 s5, 0xff0
	s_and_b32 s3, s4, s0
	s_clause 0x7
	scratch_load_b128 v[51:54], off, s5
	scratch_load_b128 v[55:58], off, s5 offset:16
	scratch_load_b128 v[59:62], off, s5 offset:32
	;; [unrolled: 1-line block ×7, first 2 shown]
	s_waitcnt vmcnt(4)
	v_mov_b32_e32 v15, v66
	s_mov_b32 exec_lo, s3
	s_cbranch_execz .LBB4_90
; %bb.81:
	v_cmp_gt_f64_e32 vcc_lo, 0, v[142:143]
	v_mov_b32_e32 v2, v113
	s_mov_b32 s5, 0
	s_branch .LBB4_83
.LBB4_82:                               ;   in Loop: Header=BB4_83 Depth=1
	s_or_b32 exec_lo, exec_lo, s2
	s_waitcnt vmcnt(0)
	v_cmp_gt_i32_e64 s2, 0, v3
	v_mov_b32_e32 v2, v3
	s_delay_alu instid0(VALU_DEP_2) | instskip(NEXT) | instid1(SALU_CYCLE_1)
	s_or_b32 s5, s2, s5
	s_and_not1_b32 exec_lo, exec_lo, s5
	s_cbranch_execz .LBB4_89
.LBB4_83:                               ; =>This Inner Loop Header: Depth=1
	s_clause 0x7
	scratch_load_b128 v[51:54], off, off offset:3056
	scratch_load_b128 v[55:58], off, off offset:3072
	;; [unrolled: 1-line block ×8, first 2 shown]
	v_cmp_eq_u32_e64 s2, 1, v2
	v_cmp_eq_u32_e64 s3, 2, v2
	s_delay_alu instid0(VALU_DEP_2) | instskip(SKIP_2) | instid1(VALU_DEP_3)
	v_cndmask_b32_e64 v3, v249, v167, s2
	v_cndmask_b32_e64 v4, v248, v166, s2
	v_cmp_eq_u32_e64 s2, 3, v2
	v_cndmask_b32_e64 v3, v3, v165, s3
	s_delay_alu instid0(VALU_DEP_3) | instskip(SKIP_1) | instid1(VALU_DEP_2)
	v_cndmask_b32_e64 v4, v4, v164, s3
	s_mov_b32 s3, 0
	v_cndmask_b32_e64 v3, v3, v116, s2
	s_delay_alu instid0(VALU_DEP_2) | instskip(SKIP_1) | instid1(VALU_DEP_1)
	v_cndmask_b32_e64 v4, v4, v115, s2
	v_cmp_eq_u32_e64 s2, 4, v2
	v_cndmask_b32_e64 v3, v3, v126, s2
	s_delay_alu instid0(VALU_DEP_3) | instskip(SKIP_1) | instid1(VALU_DEP_1)
	v_cndmask_b32_e64 v4, v4, v125, s2
	v_cmp_eq_u32_e64 s2, 5, v2
	v_cndmask_b32_e64 v4, v4, v223, s2
	s_waitcnt vmcnt(5)
	v_cndmask_b32_e64 v3, v3, v62, s2
	s_clause 0x7
	scratch_load_b128 v[51:54], off, off offset:2928
	scratch_load_b128 v[55:58], off, off offset:2944
	;; [unrolled: 1-line block ×8, first 2 shown]
	v_cmp_eq_u32_e64 s2, 6, v2
	s_waitcnt vmcnt(4)
	s_delay_alu instid0(VALU_DEP_1)
	v_cndmask_b32_e64 v3, v3, v64, s2
	s_clause 0x7
	scratch_load_b128 v[51:54], off, off offset:3312
	scratch_load_b128 v[55:58], off, off offset:3328
	scratch_load_b128 v[59:62], off, off offset:3344
	scratch_load_b128 v[63:66], off, off offset:3360
	scratch_load_b128 v[67:70], off, off offset:3376
	scratch_load_b128 v[71:74], off, off offset:3392
	scratch_load_b128 v[75:78], off, off offset:3408
	scratch_load_b128 v[79:82], off, off offset:3424
	s_waitcnt vmcnt(4)
	v_cndmask_b32_e64 v4, v4, v63, s2
	s_clause 0x7
	scratch_load_b128 v[51:54], off, off offset:3184
	scratch_load_b128 v[55:58], off, off offset:3200
	;; [unrolled: 1-line block ×8, first 2 shown]
	v_cmp_eq_u32_e64 s2, 7, v2
	s_delay_alu instid0(VALU_DEP_1) | instskip(SKIP_3) | instid1(VALU_DEP_1)
	v_cndmask_b32_e64 v3, v3, v15, s2
	s_waitcnt vmcnt(4)
	v_cndmask_b32_e64 v5, v4, v65, s2
	v_cmp_eq_u32_e64 s2, 8, v2
	v_cndmask_b32_e64 v4, v3, v50, s2
	s_delay_alu instid0(VALU_DEP_3) | instskip(SKIP_1) | instid1(VALU_DEP_2)
	v_cndmask_b32_e64 v3, v5, v201, s2
	v_lshl_add_u32 v5, v2, 2, v99
	v_cmp_ngt_f64_e64 s2, 0, v[3:4]
	scratch_load_b32 v3, v5, off
                                        ; implicit-def: $vgpr4
	s_and_saveexec_b32 s6, s2
	s_delay_alu instid0(SALU_CYCLE_1)
	s_xor_b32 s6, exec_lo, s6
	s_cbranch_execnz .LBB4_86
; %bb.84:                               ;   in Loop: Header=BB4_83 Depth=1
	s_and_not1_saveexec_b32 s2, s6
	s_cbranch_execnz .LBB4_87
.LBB4_85:                               ;   in Loop: Header=BB4_83 Depth=1
	s_or_b32 exec_lo, exec_lo, s2
	s_and_saveexec_b32 s2, s3
	s_cbranch_execz .LBB4_82
	s_branch .LBB4_88
.LBB4_86:                               ;   in Loop: Header=BB4_83 Depth=1
	scratch_load_b32 v4, off, off offset:96
                                        ; implicit-def: $vgpr5
	s_waitcnt vmcnt(0)
	v_cmp_eq_u32_e64 s2, -1, v4
	v_mov_b32_e32 v4, 0x60
	s_delay_alu instid0(VALU_DEP_2)
	s_and_b32 s3, s2, exec_lo
	s_and_not1_saveexec_b32 s2, s6
	s_cbranch_execz .LBB4_85
.LBB4_87:                               ;   in Loop: Header=BB4_83 Depth=1
	scratch_load_b32 v8, off, off offset:100
	v_mov_b32_e32 v4, 0x64
	s_or_b32 s3, s3, exec_lo
	s_waitcnt vmcnt(0)
	scratch_store_b32 v5, v8, off
	s_or_b32 exec_lo, exec_lo, s2
	s_and_saveexec_b32 s2, s3
	s_cbranch_execz .LBB4_82
.LBB4_88:                               ;   in Loop: Header=BB4_83 Depth=1
	scratch_store_b32 v4, v2, off
	s_branch .LBB4_82
.LBB4_89:
	s_or_b32 exec_lo, exec_lo, s5
	s_delay_alu instid0(SALU_CYCLE_1)
	s_and_b32 s2, vcc_lo, exec_lo
.LBB4_90:
	s_or_b32 exec_lo, exec_lo, s4
	s_and_saveexec_b32 s3, s1
; %bb.91:
	v_cmp_gt_f64_e32 vcc_lo, 0, v[140:141]
	v_lshlrev_b32_e32 v0, 2, v98
	v_lshlrev_b32_e32 v1, 2, v29
	;; [unrolled: 1-line block ×3, first 2 shown]
	s_delay_alu instid0(VALU_DEP_3) | instskip(NEXT) | instid1(VALU_DEP_3)
	v_add3_u32 v0, 16, v0, 40
	v_add3_u32 v1, 16, v1, 40
	s_delay_alu instid0(VALU_DEP_3) | instskip(SKIP_1) | instid1(SALU_CYCLE_1)
	v_add3_u32 v2, 16, v2, 40
	s_or_b32 s1, vcc_lo, s2
	v_cndmask_b32_e64 v3, v144, -1, s1
	s_clause 0x2
	scratch_store_b32 v0, v29, off
	scratch_store_b32 v1, v14, off
	;; [unrolled: 1-line block ×3, first 2 shown]
; %bb.92:
	s_or_b32 exec_lo, exec_lo, s3
	scratch_load_b32 v12, off, off offset:96
	v_mov_b32_e32 v183, 0
	v_mov_b32_e32 v184, 0
	s_delay_alu instid0(VALU_DEP_2) | instskip(SKIP_2) | instid1(VALU_DEP_4)
	v_mov_b32_e32 v181, v183
	v_mov_b32_e32 v179, v183
	;; [unrolled: 1-line block ×3, first 2 shown]
	v_dual_mov_b32 v172, v183 :: v_dual_mov_b32 v173, v184
	v_mov_b32_e32 v182, v184
	v_mov_b32_e32 v180, v184
	;; [unrolled: 1-line block ×3, first 2 shown]
	s_mov_b32 s8, exec_lo
	s_waitcnt vmcnt(0)
	v_cmpx_lt_i32_e32 -1, v12
	s_cbranch_execz .LBB4_98
; %bb.93:
	v_lshlrev_b32_e32 v0, 2, v12
	v_mov_b32_e32 v172, 0
	v_mov_b32_e32 v173, 0
	s_mov_b32 s9, exec_lo
	s_delay_alu instid0(VALU_DEP_3) | instskip(NEXT) | instid1(VALU_DEP_2)
	v_add3_u32 v0, 16, v0, 40
	v_mov_b32_e32 v178, v173
	v_mov_b32_e32 v180, v173
	v_dual_mov_b32 v182, v173 :: v_dual_mov_b32 v181, v172
	scratch_load_b32 v20, v0, off
	v_mov_b32_e32 v179, v172
	s_waitcnt vmcnt(0)
	v_dual_mov_b32 v177, v172 :: v_dual_lshlrev_b32 v0, 2, v20
	s_delay_alu instid0(VALU_DEP_1)
	v_add3_u32 v0, 16, v0, 40
	scratch_load_b32 v94, v0, off
	s_waitcnt vmcnt(0)
	v_cmpx_lt_i32_e32 -1, v94
	s_cbranch_execz .LBB4_97
; %bb.94:
	v_dual_mov_b32 v97, v50 :: v_dual_mov_b32 v2, v100
	s_clause 0x7
	scratch_load_b128 v[21:24], off, off offset:2032
	scratch_load_b128 v[25:28], off, off offset:2048
	;; [unrolled: 1-line block ×8, first 2 shown]
	v_cmp_eq_u32_e32 vcc_lo, 1, v12
	v_cmp_eq_u32_e64 s1, 2, v12
	v_mov_b32_e32 v3, v101
	v_cmp_eq_u32_e64 s2, 3, v12
	v_cmp_eq_u32_e64 s3, 4, v12
	v_cndmask_b32_e32 v0, v110, v105, vcc_lo
	v_dual_mov_b32 v8, v150 :: v_dual_mov_b32 v9, v151
	v_cmp_eq_u32_e64 s4, 5, v12
	v_cmp_eq_u32_e64 s5, 6, v12
	s_delay_alu instid0(VALU_DEP_4)
	v_cndmask_b32_e64 v0, v0, v3, s1
	v_cmp_eq_u32_e64 s6, 7, v12
	v_mov_b32_e32 v16, v107
	v_mov_b32_e32 v92, v117
	v_cmp_eq_u32_e64 s7, 8, v12
	v_mov_b32_e32 v93, v118
	s_mov_b32 s10, 0
	v_cndmask_b32_e32 v1, v109, v104, vcc_lo
	v_mov_b32_e32 v17, v108
	v_mov_b32_e32 v181, 0
	;; [unrolled: 1-line block ×3, first 2 shown]
	s_delay_alu instid0(VALU_DEP_2)
	v_mov_b32_e32 v172, v181
	v_cndmask_b32_e64 v1, v1, v2, s1
	v_mov_b32_e32 v179, v181
	v_mov_b32_e32 v177, v181
	;; [unrolled: 1-line block ×5, first 2 shown]
	s_waitcnt vmcnt(6)
	v_dual_mov_b32 v96, v28 :: v_dual_mov_b32 v95, v27
	s_clause 0x7
	scratch_load_b128 v[21:24], off, off offset:1392
	scratch_load_b128 v[25:28], off, off offset:1408
	;; [unrolled: 1-line block ×8, first 2 shown]
	v_cndmask_b32_e64 v0, v0, v96, s2
	v_cndmask_b32_e64 v1, v1, v95, s2
	s_delay_alu instid0(VALU_DEP_2) | instskip(NEXT) | instid1(VALU_DEP_2)
	v_cndmask_b32_e64 v0, v0, v9, s3
	v_cndmask_b32_e64 v1, v1, v8, s3
	s_waitcnt vmcnt(5)
	v_mov_b32_e32 v106, v32
	s_clause 0x7
	scratch_load_b128 v[21:24], off, off offset:1264
	scratch_load_b128 v[25:28], off, off offset:1280
	;; [unrolled: 1-line block ×8, first 2 shown]
	s_waitcnt vmcnt(4)
	v_mov_b32_e32 v103, v34
	s_clause 0x7
	scratch_load_b128 v[21:24], off, off offset:1136
	scratch_load_b128 v[25:28], off, off offset:1152
	scratch_load_b128 v[29:32], off, off offset:1168
	scratch_load_b128 v[33:36], off, off offset:1184
	scratch_load_b128 v[37:40], off, off offset:1200
	scratch_load_b128 v[41:44], off, off offset:1216
	scratch_load_b128 v[45:48], off, off offset:1232
	scratch_load_b128 v[49:52], off, off offset:1248
	v_cndmask_b32_e64 v0, v0, v106, s4
	s_delay_alu instid0(VALU_DEP_1)
	v_cndmask_b32_e64 v0, v0, v103, s5
	s_waitcnt vmcnt(4)
	v_mov_b32_e32 v102, v36
	s_clause 0x7
	scratch_load_b128 v[21:24], off, off offset:1520
	scratch_load_b128 v[25:28], off, off offset:1536
	;; [unrolled: 1-line block ×8, first 2 shown]
	v_cndmask_b32_e64 v0, v0, v102, s6
	s_waitcnt vmcnt(5)
	v_mov_b32_e32 v121, v31
	s_clause 0x7
	scratch_load_b128 v[21:24], off, off offset:1648
	scratch_load_b128 v[25:28], off, off offset:1664
	;; [unrolled: 1-line block ×8, first 2 shown]
	s_waitcnt vmcnt(4)
	v_mov_b32_e32 v122, v33
	s_clause 0x7
	scratch_load_b128 v[21:24], off, off offset:1776
	scratch_load_b128 v[25:28], off, off offset:1792
	scratch_load_b128 v[29:32], off, off offset:1808
	scratch_load_b128 v[33:36], off, off offset:1824
	scratch_load_b128 v[37:40], off, off offset:1840
	scratch_load_b128 v[41:44], off, off offset:1856
	scratch_load_b128 v[45:48], off, off offset:1872
	scratch_load_b128 v[49:52], off, off offset:1888
	v_cndmask_b32_e64 v1, v1, v121, s4
	s_delay_alu instid0(VALU_DEP_1)
	v_cndmask_b32_e64 v1, v1, v122, s5
	s_waitcnt vmcnt(4)
	v_mov_b32_e32 v123, v35
	s_clause 0x7
	scratch_load_b128 v[21:24], off, off offset:1008
	scratch_load_b128 v[25:28], off, off offset:1024
	;; [unrolled: 1-line block ×8, first 2 shown]
	s_waitcnt vmcnt(3)
	v_mov_b32_e32 v98, v38
	s_clause 0xf
	scratch_load_b128 v[21:24], off, off offset:1904
	scratch_load_b128 v[25:28], off, off offset:1920
	;; [unrolled: 1-line block ×16, first 2 shown]
	v_mov_b32_e32 v90, v111
	v_cndmask_b32_e64 v1, v1, v123, s6
	v_cndmask_b32_e64 v13, v0, v98, s7
	v_dual_mov_b32 v91, v112 :: v_dual_cndmask_b32 v0, v93, v17
	s_waitcnt vmcnt(11)
	v_mov_b32_e32 v124, v37
	s_waitcnt vmcnt(1)
	v_dual_mov_b32 v83, v65 :: v_dual_mov_b32 v82, v64
	s_clause 0xf
	scratch_load_b128 v[50:53], off, off offset:240
	scratch_load_b128 v[54:57], off, off offset:256
	;; [unrolled: 1-line block ×16, first 2 shown]
	v_cndmask_b32_e64 v12, v1, v124, s7
	v_cndmask_b32_e32 v1, v92, v16, vcc_lo
	v_cndmask_b32_e64 v0, v0, v91, s1
	s_delay_alu instid0(VALU_DEP_2) | instskip(NEXT) | instid1(VALU_DEP_2)
	v_cndmask_b32_e64 v1, v1, v90, s1
	v_cndmask_b32_e64 v0, v0, v83, s2
	s_waitcnt vmcnt(11)
	v_dual_mov_b32 v69, v59 :: v_dual_mov_b32 v68, v58
	s_waitcnt vmcnt(5)
	v_mov_b32_e32 v11, v32
	s_clause 0x7
	scratch_load_b128 v[21:24], off, off offset:2800
	scratch_load_b128 v[25:28], off, off offset:2816
	;; [unrolled: 1-line block ×8, first 2 shown]
	v_cndmask_b32_e64 v1, v1, v82, s2
	v_cndmask_b32_e64 v0, v0, v69, s3
	s_delay_alu instid0(VALU_DEP_2) | instskip(NEXT) | instid1(VALU_DEP_2)
	v_cndmask_b32_e64 v1, v1, v68, s3
	v_cndmask_b32_e64 v0, v0, v11, s4
	s_waitcnt vmcnt(5)
	v_mov_b32_e32 v79, v31
	s_clause 0x7
	scratch_load_b128 v[21:24], off, off offset:2288
	scratch_load_b128 v[25:28], off, off offset:2304
	scratch_load_b128 v[29:32], off, off offset:2320
	scratch_load_b128 v[33:36], off, off offset:2336
	scratch_load_b128 v[37:40], off, off offset:2352
	scratch_load_b128 v[41:44], off, off offset:2368
	scratch_load_b128 v[45:48], off, off offset:2384
	scratch_load_b128 v[49:52], off, off offset:2400
	s_waitcnt vmcnt(4)
	v_mov_b32_e32 v75, v34
	s_clause 0x7
	scratch_load_b128 v[21:24], off, off offset:2672
	scratch_load_b128 v[25:28], off, off offset:2688
	scratch_load_b128 v[29:32], off, off offset:2704
	scratch_load_b128 v[33:36], off, off offset:2720
	scratch_load_b128 v[37:40], off, off offset:2736
	scratch_load_b128 v[41:44], off, off offset:2752
	scratch_load_b128 v[45:48], off, off offset:2768
	scratch_load_b128 v[49:52], off, off offset:2784
	;; [unrolled: 11-line block ×3, first 2 shown]
	v_cndmask_b32_e64 v1, v1, v79, s4
	s_delay_alu instid0(VALU_DEP_1)
	v_cndmask_b32_e64 v1, v1, v78, s5
	s_waitcnt vmcnt(4)
	v_mov_b32_e32 v74, v36
	s_clause 0x7
	scratch_load_b128 v[21:24], off, off offset:2544
	scratch_load_b128 v[25:28], off, off offset:2560
	;; [unrolled: 1-line block ×8, first 2 shown]
	v_cndmask_b32_e64 v0, v0, v75, s5
	s_delay_alu instid0(VALU_DEP_1)
	v_cndmask_b32_e64 v0, v0, v74, s6
	s_waitcnt vmcnt(4)
	v_mov_b32_e32 v77, v35
	s_clause 0x7
	scratch_load_b128 v[21:24], off, off offset:752
	scratch_load_b128 v[25:28], off, off offset:768
	;; [unrolled: 1-line block ×8, first 2 shown]
	s_waitcnt vmcnt(3)
	v_mov_b32_e32 v73, v38
	s_clause 0x7
	scratch_load_b128 v[21:24], off, off offset:880
	scratch_load_b128 v[25:28], off, off offset:896
	;; [unrolled: 1-line block ×8, first 2 shown]
	v_cndmask_b32_e64 v15, v0, v73, s7
	v_cndmask_b32_e32 v0, v252, v254, vcc_lo
	s_delay_alu instid0(VALU_DEP_1) | instskip(NEXT) | instid1(VALU_DEP_1)
	v_cndmask_b32_e64 v0, v0, v246, s1
	v_cndmask_b32_e64 v0, v0, v176, s2
	s_delay_alu instid0(VALU_DEP_1)
	v_cndmask_b32_e64 v0, v0, v136, s3
	s_waitcnt vmcnt(3)
	v_mov_b32_e32 v76, v37
	s_clause 0x7
	scratch_load_b128 v[21:24], off, off offset:3824
	scratch_load_b128 v[25:28], off, off offset:3840
	;; [unrolled: 1-line block ×8, first 2 shown]
	v_cndmask_b32_e64 v1, v1, v77, s6
	s_delay_alu instid0(VALU_DEP_1)
	v_cndmask_b32_e64 v14, v1, v76, s7
	s_waitcnt vmcnt(5)
	v_mov_b32_e32 v71, v32
	s_clause 0x7
	scratch_load_b128 v[21:24], off, off offset:624
	scratch_load_b128 v[25:28], off, off offset:640
	;; [unrolled: 1-line block ×8, first 2 shown]
	s_waitcnt vmcnt(5)
	v_mov_b32_e32 v10, v31
	s_clause 0x7
	scratch_load_b128 v[21:24], off, off offset:3696
	scratch_load_b128 v[25:28], off, off offset:3712
	;; [unrolled: 1-line block ×8, first 2 shown]
	v_cndmask_b32_e32 v1, v251, v253, vcc_lo
	v_cmp_eq_u32_e32 vcc_lo, 1, v20
	v_cndmask_b32_e64 v0, v0, v71, s4
	s_waitcnt vmcnt(4)
	v_mov_b32_e32 v70, v34
	s_clause 0xf
	scratch_load_b128 v[21:24], off, off offset:496
	scratch_load_b128 v[25:28], off, off offset:512
	;; [unrolled: 1-line block ×16, first 2 shown]
	v_cndmask_b32_e64 v1, v1, v245, s1
	s_waitcnt vmcnt(2)
	v_mov_b32_e32 v58, v169
	v_cndmask_b32_e64 v0, v0, v70, s5
	v_cmp_eq_u32_e64 s1, 2, v20
	v_cndmask_b32_e64 v1, v1, v175, s2
	v_cmp_eq_u32_e64 s2, 3, v20
	s_delay_alu instid0(VALU_DEP_2) | instskip(SKIP_1) | instid1(VALU_DEP_2)
	v_cndmask_b32_e64 v1, v1, v135, s3
	v_cmp_eq_u32_e64 s3, 4, v20
	v_cndmask_b32_e64 v1, v1, v10, s4
	v_cmp_eq_u32_e64 s4, 5, v20
	v_dual_mov_b32 v72, v33 :: v_dual_mov_b32 v59, v51
	s_clause 0x7
	scratch_load_b128 v[21:24], off, off offset:368
	scratch_load_b128 v[25:28], off, off offset:384
	;; [unrolled: 1-line block ×8, first 2 shown]
	v_cndmask_b32_e64 v1, v1, v72, s5
	v_cndmask_b32_e64 v0, v0, v59, s6
	v_cmp_eq_u32_e64 s5, 6, v20
	s_delay_alu instid0(VALU_DEP_2) | instskip(SKIP_1) | instid1(VALU_DEP_1)
	v_cndmask_b32_e64 v19, v0, v58, s7
	v_cndmask_b32_e32 v0, v93, v17, vcc_lo
	v_cndmask_b32_e64 v0, v0, v91, s1
	s_delay_alu instid0(VALU_DEP_1) | instskip(NEXT) | instid1(VALU_DEP_1)
	v_cndmask_b32_e64 v0, v0, v83, s2
	v_cndmask_b32_e64 v0, v0, v69, s3
	s_delay_alu instid0(VALU_DEP_1) | instskip(NEXT) | instid1(VALU_DEP_1)
	v_cndmask_b32_e64 v0, v0, v11, s4
	v_cndmask_b32_e64 v0, v0, v75, s5
	s_waitcnt vmcnt(4)
	v_mov_b32_e32 v60, v35
	s_clause 0x7
	scratch_load_b128 v[22:25], off, off offset:3952
	scratch_load_b128 v[26:29], off, off offset:3968
	;; [unrolled: 1-line block ×8, first 2 shown]
	v_cndmask_b32_e64 v1, v1, v60, s6
	v_cmp_eq_u32_e64 s6, 7, v20
	s_delay_alu instid0(VALU_DEP_1) | instskip(SKIP_1) | instid1(VALU_DEP_3)
	v_cndmask_b32_e64 v0, v0, v74, s6
	s_waitcnt vmcnt(3)
	v_cndmask_b32_e64 v18, v1, v38, s7
	v_cndmask_b32_e32 v1, v92, v16, vcc_lo
	v_cmp_eq_u32_e64 s7, 8, v20
	s_delay_alu instid0(VALU_DEP_3) | instskip(NEXT) | instid1(VALU_DEP_3)
	v_mul_f64 v[22:23], v[18:19], v[12:13]
	v_cndmask_b32_e64 v1, v1, v90, s1
	s_delay_alu instid0(VALU_DEP_3) | instskip(SKIP_4) | instid1(VALU_DEP_1)
	v_cndmask_b32_e64 v21, v0, v73, s7
	v_cndmask_b32_e32 v0, v110, v105, vcc_lo
	v_mul_f64 v[24:25], v[18:19], v[14:15]
	v_mul_f64 v[26:27], v[18:19], v[18:19]
	v_cndmask_b32_e64 v1, v1, v82, s2
	v_cndmask_b32_e64 v1, v1, v68, s3
	s_delay_alu instid0(VALU_DEP_1) | instskip(NEXT) | instid1(VALU_DEP_1)
	v_cndmask_b32_e64 v1, v1, v79, s4
	v_cndmask_b32_e64 v1, v1, v78, s5
	s_delay_alu instid0(VALU_DEP_1) | instskip(NEXT) | instid1(VALU_DEP_1)
	v_cndmask_b32_e64 v1, v1, v77, s6
	v_cndmask_b32_e64 v20, v1, v76, s7
	v_cndmask_b32_e32 v1, v109, v104, vcc_lo
	v_cndmask_b32_e64 v0, v0, v3, s1
	s_delay_alu instid0(VALU_DEP_3) | instskip(NEXT) | instid1(VALU_DEP_3)
	v_add_f64 v[34:35], v[20:21], -v[14:15]
	v_cndmask_b32_e64 v1, v1, v2, s1
	s_delay_alu instid0(VALU_DEP_3) | instskip(NEXT) | instid1(VALU_DEP_2)
	v_cndmask_b32_e64 v0, v0, v96, s2
	v_cndmask_b32_e64 v1, v1, v95, s2
	s_delay_alu instid0(VALU_DEP_2) | instskip(NEXT) | instid1(VALU_DEP_2)
	v_cndmask_b32_e64 v0, v0, v9, s3
	v_cndmask_b32_e64 v1, v1, v8, s3
	s_delay_alu instid0(VALU_DEP_2) | instskip(NEXT) | instid1(VALU_DEP_2)
	;; [unrolled: 3-line block ×4, first 2 shown]
	v_cndmask_b32_e64 v0, v0, v102, s6
	v_cndmask_b32_e64 v1, v1, v123, s6
	s_delay_alu instid0(VALU_DEP_2) | instskip(SKIP_1) | instid1(VALU_DEP_3)
	v_cndmask_b32_e64 v29, v0, v98, s7
	v_cndmask_b32_e32 v0, v252, v254, vcc_lo
	v_cndmask_b32_e64 v28, v1, v124, s7
	v_cndmask_b32_e32 v1, v251, v253, vcc_lo
	s_delay_alu instid0(VALU_DEP_3) | instskip(NEXT) | instid1(VALU_DEP_3)
	v_cndmask_b32_e64 v0, v0, v246, s1
	v_add_f64 v[32:33], v[28:29], -v[12:13]
	s_delay_alu instid0(VALU_DEP_3) | instskip(NEXT) | instid1(VALU_DEP_3)
	v_cndmask_b32_e64 v1, v1, v245, s1
	v_cndmask_b32_e64 v0, v0, v176, s2
	s_delay_alu instid0(VALU_DEP_2) | instskip(NEXT) | instid1(VALU_DEP_2)
	v_cndmask_b32_e64 v1, v1, v175, s2
	v_cndmask_b32_e64 v0, v0, v136, s3
	s_delay_alu instid0(VALU_DEP_2) | instskip(NEXT) | instid1(VALU_DEP_2)
	;; [unrolled: 3-line block ×5, first 2 shown]
	v_cndmask_b32_e64 v1, v1, v60, s6
	v_cndmask_b32_e64 v31, v0, v58, s7
	s_delay_alu instid0(VALU_DEP_2)
	v_cndmask_b32_e64 v30, v1, v38, s7
.LBB4_95:                               ; =>This Inner Loop Header: Depth=1
	v_cmp_eq_u32_e32 vcc_lo, 1, v94
	v_cmp_eq_u32_e64 s1, 2, v94
	v_cmp_eq_u32_e64 s2, 3, v94
	;; [unrolled: 1-line block ×4, first 2 shown]
	v_dual_cndmask_b32 v39, v110, v105 :: v_dual_mov_b32 v36, v100
	s_waitcnt vmcnt(2)
	v_dual_mov_b32 v37, v101 :: v_dual_cndmask_b32 v44, v92, v16
	v_cndmask_b32_e32 v42, v109, v104, vcc_lo
	v_cmp_eq_u32_e64 s5, 6, v94
	v_cmp_eq_u32_e64 s6, 7, v94
	s_delay_alu instid0(VALU_DEP_4)
	v_cndmask_b32_e64 v39, v39, v37, s1
	v_cmp_eq_u32_e64 s7, 8, v94
	v_cndmask_b32_e64 v42, v42, v36, s1
	v_cndmask_b32_e64 v44, v44, v90, s1
	v_fma_f64 v[54:55], v[30:31], v[30:31], v[26:27]
	v_cndmask_b32_e64 v39, v39, v96, s2
	v_add_f64 v[56:57], v[18:19], v[30:31]
	v_cndmask_b32_e64 v42, v42, v95, s2
	v_cndmask_b32_e64 v44, v44, v82, s2
	s_delay_alu instid0(VALU_DEP_4) | instskip(NEXT) | instid1(VALU_DEP_3)
	v_cndmask_b32_e64 v39, v39, v9, s3
	v_cndmask_b32_e64 v42, v42, v8, s3
	s_delay_alu instid0(VALU_DEP_3) | instskip(NEXT) | instid1(VALU_DEP_3)
	v_cndmask_b32_e64 v44, v44, v68, s3
	v_cndmask_b32_e64 v39, v39, v106, s4
	s_delay_alu instid0(VALU_DEP_3) | instskip(NEXT) | instid1(VALU_DEP_3)
	;; [unrolled: 3-line block ×5, first 2 shown]
	v_cndmask_b32_e64 v42, v42, v123, s6
	v_cndmask_b32_e64 v44, v44, v77, s6
	s_delay_alu instid0(VALU_DEP_3) | instskip(SKIP_1) | instid1(VALU_DEP_4)
	v_cndmask_b32_e64 v43, v39, v98, s7
	v_cndmask_b32_e32 v39, v93, v17, vcc_lo
	v_cndmask_b32_e64 v42, v42, v124, s7
	s_delay_alu instid0(VALU_DEP_4) | instskip(NEXT) | instid1(VALU_DEP_3)
	v_cndmask_b32_e64 v44, v44, v76, s7
	v_cndmask_b32_e64 v39, v39, v91, s1
	s_waitcnt vmcnt(1)
	s_delay_alu instid0(VALU_DEP_3) | instskip(NEXT) | instid1(VALU_DEP_2)
	v_add_f64 v[46:47], v[42:43], -v[12:13]
	v_cndmask_b32_e64 v39, v39, v83, s2
	s_delay_alu instid0(VALU_DEP_1) | instskip(NEXT) | instid1(VALU_DEP_1)
	v_cndmask_b32_e64 v39, v39, v69, s3
	v_cndmask_b32_e64 v39, v39, v11, s4
	s_delay_alu instid0(VALU_DEP_1) | instskip(NEXT) | instid1(VALU_DEP_1)
	v_cndmask_b32_e64 v39, v39, v75, s5
	;; [unrolled: 3-line block ×3, first 2 shown]
	v_add_f64 v[48:49], v[44:45], -v[14:15]
	v_mul_f64 v[34:35], v[46:47], v[34:35]
	s_delay_alu instid0(VALU_DEP_1) | instskip(SKIP_1) | instid1(VALU_DEP_1)
	v_fma_f64 v[32:33], v[48:49], v[32:33], -v[34:35]
	v_dual_cndmask_b32 v34, v252, v254 :: v_dual_cndmask_b32 v35, v251, v253
	v_cndmask_b32_e64 v34, v34, v246, s1
	s_delay_alu instid0(VALU_DEP_2) | instskip(NEXT) | instid1(VALU_DEP_2)
	v_cndmask_b32_e64 v35, v35, v245, s1
	v_cndmask_b32_e64 v34, v34, v176, s2
	s_delay_alu instid0(VALU_DEP_2) | instskip(NEXT) | instid1(VALU_DEP_2)
	v_cndmask_b32_e64 v35, v35, v175, s2
	v_cndmask_b32_e64 v34, v34, v136, s3
	s_delay_alu instid0(VALU_DEP_2) | instskip(NEXT) | instid1(VALU_DEP_2)
	v_cndmask_b32_e64 v35, v35, v135, s3
	v_cndmask_b32_e64 v34, v34, v71, s4
	s_delay_alu instid0(VALU_DEP_2) | instskip(NEXT) | instid1(VALU_DEP_2)
	v_cndmask_b32_e64 v35, v35, v10, s4
	v_cndmask_b32_e64 v34, v34, v70, s5
	s_delay_alu instid0(VALU_DEP_2) | instskip(NEXT) | instid1(VALU_DEP_2)
	v_cndmask_b32_e64 v35, v35, v72, s5
	v_cndmask_b32_e64 v34, v34, v59, s6
	s_delay_alu instid0(VALU_DEP_2) | instskip(SKIP_1) | instid1(VALU_DEP_2)
	v_cndmask_b32_e64 v35, v35, v60, s6
	s_waitcnt vmcnt(0)
	v_cndmask_b32_e64 v53, v34, v58, s7
	s_delay_alu instid0(VALU_DEP_2) | instskip(SKIP_2) | instid1(VALU_DEP_3)
	v_cndmask_b32_e64 v52, v35, v38, s7
	v_add_f64 v[34:35], v[12:13], v[28:29]
	v_fma_f64 v[28:29], v[28:29], v[30:31], v[22:23]
	v_fma_f64 v[54:55], v[52:53], v[52:53], v[54:55]
	v_add_f64 v[56:57], v[52:53], v[56:57]
	s_delay_alu instid0(VALU_DEP_4) | instskip(NEXT) | instid1(VALU_DEP_4)
	v_add_f64 v[34:35], v[34:35], v[42:43]
	v_fma_f64 v[28:29], v[52:53], v[42:43], v[28:29]
	s_delay_alu instid0(VALU_DEP_4) | instskip(NEXT) | instid1(VALU_DEP_4)
	v_fma_f64 v[54:55], v[18:19], v[30:31], v[54:55]
	v_fma_f64 v[181:182], v[56:57], v[32:33], v[181:182]
	v_mul_f64 v[56:57], v[56:57], v[32:33]
	s_delay_alu instid0(VALU_DEP_3) | instskip(NEXT) | instid1(VALU_DEP_2)
	v_fma_f64 v[54:55], v[18:19], v[52:53], v[54:55]
	v_mul_f64 v[34:35], v[34:35], v[56:57]
	s_delay_alu instid0(VALU_DEP_2) | instskip(SKIP_2) | instid1(VALU_DEP_4)
	v_fma_f64 v[54:55], v[52:53], v[30:31], v[54:55]
	v_fma_f64 v[30:31], v[20:21], v[30:31], v[24:25]
	v_add_f64 v[20:21], v[14:15], v[20:21]
	v_fma_f64 v[28:29], v[28:29], v[32:33], v[34:35]
	v_dual_mov_b32 v34, v48 :: v_dual_mov_b32 v35, v49
	v_fma_f64 v[172:173], v[32:33], v[54:55], v[172:173]
	v_fma_f64 v[30:31], v[52:53], v[44:45], v[30:31]
	v_add_f64 v[20:21], v[44:45], v[20:21]
	v_add_f64 v[179:180], v[179:180], v[28:29]
	v_dual_mov_b32 v28, v42 :: v_dual_mov_b32 v29, v43
	s_delay_alu instid0(VALU_DEP_3) | instskip(NEXT) | instid1(VALU_DEP_1)
	v_mul_f64 v[20:21], v[20:21], v[56:57]
	v_fma_f64 v[20:21], v[30:31], v[32:33], v[20:21]
	v_dual_mov_b32 v32, v46 :: v_dual_mov_b32 v33, v47
	v_dual_mov_b32 v30, v52 :: v_dual_mov_b32 v31, v53
	s_delay_alu instid0(VALU_DEP_3)
	v_add_f64 v[177:178], v[177:178], v[20:21]
	v_lshl_add_u32 v20, v94, 2, v99
	scratch_load_b32 v94, v20, off
	v_dual_mov_b32 v20, v44 :: v_dual_mov_b32 v21, v45
	s_waitcnt vmcnt(0)
	v_cmp_gt_i32_e32 vcc_lo, 0, v94
	s_or_b32 s10, vcc_lo, s10
	s_delay_alu instid0(SALU_CYCLE_1)
	s_and_not1_b32 exec_lo, exec_lo, s10
	s_cbranch_execnz .LBB4_95
; %bb.96:
	s_or_b32 exec_lo, exec_lo, s10
	v_mov_b32_e32 v50, v97
.LBB4_97:
	s_or_b32 exec_lo, exec_lo, s9
	s_movk_i32 s1, 0xff0
	s_clause 0x7
	scratch_load_b128 v[0:3], off, s1
	scratch_load_b128 v[4:7], off, s1 offset:16
	scratch_load_b128 v[8:11], off, s1 offset:32
	;; [unrolled: 1-line block ×7, first 2 shown]
.LBB4_98:
	s_or_b32 exec_lo, exec_lo, s8
	s_delay_alu instid0(SALU_CYCLE_1)
	s_mov_b32 s9, exec_lo
	s_clause 0x7
	scratch_load_b128 v[16:19], off, off offset:2928
	scratch_load_b128 v[20:23], off, off offset:2944
	;; [unrolled: 1-line block ×8, first 2 shown]
	s_and_b32 s1, s9, s0
	s_waitcnt vmcnt(4)
	v_mov_b32_e32 v53, v29
	s_clause 0x7
	scratch_load_b128 v[16:19], off, off offset:3056
	scratch_load_b128 v[20:23], off, off offset:3072
	scratch_load_b128 v[24:27], off, off offset:3088
	scratch_load_b128 v[28:31], off, off offset:3104
	scratch_load_b128 v[32:35], off, off offset:3120
	scratch_load_b128 v[36:39], off, off offset:3136
	scratch_load_b128 v[40:43], off, off offset:3152
	scratch_load_b128 v[44:47], off, off offset:3168
	s_waitcnt vmcnt(5)
	v_mov_b32_e32 v54, v27
	s_clause 0x7
	scratch_load_b128 v[16:19], off, off offset:3184
	scratch_load_b128 v[20:23], off, off offset:3200
	scratch_load_b128 v[24:27], off, off offset:3216
	scratch_load_b128 v[28:31], off, off offset:3232
	scratch_load_b128 v[32:35], off, off offset:3248
	scratch_load_b128 v[36:39], off, off offset:3264
	scratch_load_b128 v[40:43], off, off offset:3280
	scratch_load_b128 v[44:47], off, off offset:3296
	s_waitcnt vmcnt(4)
	v_mov_b32_e32 v55, v30
	s_clause 0x7
	scratch_load_b128 v[16:19], off, off offset:3312
	scratch_load_b128 v[20:23], off, off offset:3328
	scratch_load_b128 v[24:27], off, off offset:3344
	scratch_load_b128 v[28:31], off, off offset:3360
	scratch_load_b128 v[32:35], off, off offset:3376
	scratch_load_b128 v[36:39], off, off offset:3392
	scratch_load_b128 v[40:43], off, off offset:3408
	scratch_load_b128 v[44:47], off, off offset:3424
	s_waitcnt vmcnt(4)
	v_mov_b32_e32 v56, v28
	s_mov_b32 exec_lo, s1
	s_cbranch_execz .LBB4_102
; %bb.99:
	v_mov_b32_e32 v10, v113
	s_mov_b32 s10, 0x4ad4b81f
	s_mov_b32 s11, 0xb58dee7a
	;; [unrolled: 1-line block ×3, first 2 shown]
.LBB4_100:                              ; =>This Inner Loop Header: Depth=1
	s_delay_alu instid0(VALU_DEP_1)
	v_cmp_eq_u32_e32 vcc_lo, 1, v10
	v_cmp_eq_u32_e64 s1, 2, v10
	v_cmp_eq_u32_e64 s2, 3, v10
	;; [unrolled: 1-line block ×8, first 2 shown]
	v_lshl_add_u32 v10, v10, 2, 16
	v_dual_cndmask_b32 v11, v249, v167 :: v_dual_cndmask_b32 v12, v248, v166
	scratch_load_b32 v10, v10, off
	v_cndmask_b32_e64 v11, v11, v165, s1
	v_cndmask_b32_e64 v12, v12, v164, s1
	s_delay_alu instid0(VALU_DEP_2) | instskip(NEXT) | instid1(VALU_DEP_2)
	v_cndmask_b32_e64 v11, v11, v116, s2
	v_cndmask_b32_e64 v12, v12, v115, s2
	s_delay_alu instid0(VALU_DEP_2) | instskip(NEXT) | instid1(VALU_DEP_2)
	;; [unrolled: 3-line block ×6, first 2 shown]
	v_cndmask_b32_e64 v12, v11, v50, s7
	v_cndmask_b32_e64 v11, v13, v201, s7
	s_delay_alu instid0(VALU_DEP_1) | instskip(NEXT) | instid1(VALU_DEP_1)
	v_add_f64 v[11:12], -v[11:12], s[10:11]
	v_dual_cndmask_b32 v167, v167, v12 :: v_dual_cndmask_b32 v166, v166, v11
	v_cndmask_b32_e64 v50, v50, v12, s7
	v_cndmask_b32_e64 v201, v201, v11, s7
	;; [unrolled: 1-line block ×16, first 2 shown]
	s_waitcnt vmcnt(0)
	v_cmp_gt_i32_e32 vcc_lo, 0, v10
	s_or_b32 s12, vcc_lo, s12
	s_delay_alu instid0(SALU_CYCLE_1)
	s_and_not1_b32 exec_lo, exec_lo, s12
	s_cbranch_execnz .LBB4_100
; %bb.101:
	s_or_b32 exec_lo, exec_lo, s12
	v_cmp_eq_u32_e32 vcc_lo, 1, v113
	v_cmp_eq_u32_e64 s1, 2, v113
	v_dual_cndmask_b32 v10, v249, v167 :: v_dual_cndmask_b32 v11, v248, v166
	v_cmp_eq_u32_e32 vcc_lo, 3, v113
	s_delay_alu instid0(VALU_DEP_2) | instskip(NEXT) | instid1(VALU_DEP_3)
	v_cndmask_b32_e64 v10, v10, v165, s1
	v_cndmask_b32_e64 v11, v11, v164, s1
	s_delay_alu instid0(VALU_DEP_1) | instskip(SKIP_1) | instid1(VALU_DEP_2)
	v_dual_cndmask_b32 v10, v10, v116 :: v_dual_cndmask_b32 v11, v11, v115
	v_cmp_eq_u32_e32 vcc_lo, 4, v113
	v_dual_cndmask_b32 v10, v10, v126 :: v_dual_cndmask_b32 v11, v11, v125
	v_cmp_eq_u32_e32 vcc_lo, 5, v113
	s_delay_alu instid0(VALU_DEP_2) | instskip(SKIP_1) | instid1(VALU_DEP_2)
	v_dual_cndmask_b32 v10, v10, v54 :: v_dual_cndmask_b32 v11, v11, v223
	v_cmp_eq_u32_e32 vcc_lo, 6, v113
	v_dual_cndmask_b32 v10, v10, v53 :: v_dual_cndmask_b32 v11, v11, v56
	v_cmp_eq_u32_e32 vcc_lo, 7, v113
	s_delay_alu instid0(VALU_DEP_2) | instskip(NEXT) | instid1(VALU_DEP_3)
	v_cndmask_b32_e32 v12, v11, v55, vcc_lo
	v_cndmask_b32_e32 v10, v10, v15, vcc_lo
	v_cmp_eq_u32_e32 vcc_lo, 8, v113
	s_delay_alu instid0(VALU_DEP_2)
	v_dual_cndmask_b32 v183, v12, v201 :: v_dual_cndmask_b32 v184, v10, v50
.LBB4_102:
	s_or_b32 exec_lo, exec_lo, s9
	v_dual_mov_b32 v170, -1 :: v_dual_mov_b32 v127, -1
	s_delay_alu instid0(VALU_DEP_2) | instskip(NEXT) | instid1(VALU_DEP_2)
	v_dual_mov_b32 v171, -1 :: v_dual_mov_b32 v162, v183
	v_dual_mov_b32 v163, v184 :: v_dual_mov_b32 v18, v170
	s_delay_alu instid0(VALU_DEP_2)
	v_dual_mov_b32 v168, -1 :: v_dual_mov_b32 v19, v171
	s_and_saveexec_b32 s5, s0
	s_cbranch_execz .LBB4_106
; %bb.103:
	v_dual_mov_b32 v170, -1 :: v_dual_mov_b32 v19, v183
	v_dual_mov_b32 v127, -1 :: v_dual_mov_b32 v22, v113
	v_mov_b32_e32 v18, -1
	v_mov_b32_e32 v168, -1
	v_mov_b32_e32 v20, v184
	s_mov_b32 s6, 0
.LBB4_104:                              ; =>This Inner Loop Header: Depth=1
	v_lshl_add_u32 v12, v22, 2, 16
	s_delay_alu instid0(VALU_DEP_2)
	v_dual_mov_b32 v163, v20 :: v_dual_mov_b32 v162, v19
	scratch_load_b32 v25, v12, off
	v_cmp_gt_f64_e64 s3, 0, v[162:163]
	s_waitcnt vmcnt(0)
	v_cmp_gt_i32_e32 vcc_lo, 0, v25
	v_cndmask_b32_e32 v26, v25, v113, vcc_lo
	s_delay_alu instid0(VALU_DEP_1) | instskip(SKIP_1) | instid1(VALU_DEP_2)
	v_cmp_eq_u32_e64 s1, 1, v26
	v_cmp_eq_u32_e64 s2, 2, v26
	v_cndmask_b32_e64 v12, v249, v167, s1
	v_cndmask_b32_e64 v13, v248, v166, s1
	v_cmp_eq_u32_e64 s1, 3, v26
	s_delay_alu instid0(VALU_DEP_3) | instskip(NEXT) | instid1(VALU_DEP_3)
	v_cndmask_b32_e64 v12, v12, v165, s2
	v_cndmask_b32_e64 v13, v13, v164, s2
	s_delay_alu instid0(VALU_DEP_2) | instskip(NEXT) | instid1(VALU_DEP_2)
	v_cndmask_b32_e64 v12, v12, v116, s1
	v_cndmask_b32_e64 v13, v13, v115, s1
	v_cmp_eq_u32_e64 s1, 4, v26
	s_delay_alu instid0(VALU_DEP_1) | instskip(NEXT) | instid1(VALU_DEP_3)
	v_cndmask_b32_e64 v12, v12, v126, s1
	v_cndmask_b32_e64 v13, v13, v125, s1
	v_cmp_eq_u32_e64 s1, 5, v26
	s_delay_alu instid0(VALU_DEP_1) | instskip(NEXT) | instid1(VALU_DEP_3)
	;; [unrolled: 4-line block ×5, first 2 shown]
	v_cndmask_b32_e64 v24, v12, v50, s1
	v_cndmask_b32_e64 v23, v13, v201, s1
	v_cmp_le_f64_e64 s1, 0, v[162:163]
	s_delay_alu instid0(VALU_DEP_2) | instskip(SKIP_2) | instid1(VALU_DEP_3)
	v_cmp_gt_f64_e64 s2, 0, v[23:24]
	v_cmp_le_f64_e64 s4, 0, v[23:24]
	v_dual_mov_b32 v19, v23 :: v_dual_mov_b32 v20, v24
	s_and_b32 s1, s1, s2
	s_delay_alu instid0(VALU_DEP_2)
	s_and_b32 s2, s3, s4
	v_cndmask_b32_e64 v127, v127, v22, s1
	v_cndmask_b32_e64 v170, v170, v22, s2
	v_mov_b32_e32 v22, v25
	v_cndmask_b32_e64 v18, v18, v26, s1
	v_cndmask_b32_e64 v168, v168, v26, s2
	s_or_b32 s6, vcc_lo, s6
	s_delay_alu instid0(SALU_CYCLE_1)
	s_and_not1_b32 exec_lo, exec_lo, s6
	s_cbranch_execnz .LBB4_104
; %bb.105:
	s_or_b32 exec_lo, exec_lo, s6
.LBB4_106:
	s_delay_alu instid0(SALU_CYCLE_1) | instskip(SKIP_4) | instid1(VALU_DEP_3)
	s_or_b32 exec_lo, exec_lo, s5
	v_cmp_lt_i32_e64 s1, -1, v127
	v_dual_mov_b32 v171, -1 :: v_dual_mov_b32 v28, -1
	s_waitcnt vmcnt(2)
	v_mov_b32_e32 v39, -1
	s_and_saveexec_b32 s26, s1
	s_cbranch_execz .LBB4_108
; %bb.107:
	v_cmp_eq_u32_e64 s2, 1, v18
	v_cmp_eq_u32_e64 s3, 2, v18
	;; [unrolled: 1-line block ×5, first 2 shown]
	v_cndmask_b32_e64 v20, v249, v167, s2
	v_cmp_eq_u32_e64 s9, 6, v18
	v_cmp_eq_u32_e64 s10, 7, v18
	v_cmp_eq_u32_e64 s11, 8, v18
	v_cndmask_b32_e64 v18, v248, v166, s2
	v_cndmask_b32_e64 v20, v20, v165, s3
	v_cmp_eq_u32_e64 s12, 1, v127
	v_cmp_eq_u32_e64 s13, 2, v127
	v_cmp_eq_u32_e64 s14, 3, v127
	v_cndmask_b32_e64 v18, v18, v164, s3
	;; [unrolled: 5-line block ×3, first 2 shown]
	v_cndmask_b32_e64 v20, v20, v126, s5
	v_cmp_eq_u32_e64 s18, 7, v127
	v_cmp_eq_u32_e64 s19, 8, v127
	v_mov_b32_e32 v106, v50
	v_cndmask_b32_e64 v18, v18, v125, s5
	v_cndmask_b32_e64 v20, v20, v54, s6
	v_dual_mov_b32 v149, v101 :: v_dual_mov_b32 v148, v100
	v_cmp_eq_u32_e64 s20, 7, v114
	s_delay_alu instid0(VALU_DEP_4) | instskip(NEXT) | instid1(VALU_DEP_4)
	v_cndmask_b32_e64 v18, v18, v223, s6
	v_cndmask_b32_e64 v20, v20, v53, s9
	v_dual_mov_b32 v187, v53 :: v_dual_mov_b32 v188, v54
	v_dual_mov_b32 v189, v55 :: v_dual_mov_b32 v190, v56
	s_delay_alu instid0(VALU_DEP_4) | instskip(NEXT) | instid1(VALU_DEP_4)
	v_cndmask_b32_e64 v18, v18, v56, s9
	v_cndmask_b32_e64 v20, v20, v15, s10
	v_cmp_eq_u32_e64 s22, 5, v114
	v_cmp_eq_u32_e64 s21, 6, v114
	v_dual_mov_b32 v153, v112 :: v_dual_mov_b32 v186, v15
	v_cndmask_b32_e64 v18, v18, v55, s10
	v_cndmask_b32_e64 v155, v20, v50, s11
	v_cndmask_b32_e64 v20, v248, v166, s12
	v_cmp_eq_u32_e64 s8, 3, v114
	v_cmp_eq_u32_e64 s7, 4, v114
	v_cndmask_b32_e64 v154, v18, v201, s11
	v_cndmask_b32_e64 v18, v249, v167, s12
	;; [unrolled: 1-line block ×3, first 2 shown]
	v_mov_b32_e32 v152, v111
	s_delay_alu instid0(VALU_DEP_4) | instskip(NEXT) | instid1(VALU_DEP_4)
	v_add_f64 v[22:23], -v[154:155], 0
	v_cndmask_b32_e64 v18, v18, v165, s13
	s_delay_alu instid0(VALU_DEP_4) | instskip(NEXT) | instid1(VALU_DEP_2)
	v_cndmask_b32_e64 v20, v20, v115, s14
	v_cndmask_b32_e64 v18, v18, v116, s14
	s_delay_alu instid0(VALU_DEP_2) | instskip(NEXT) | instid1(VALU_DEP_2)
	v_cndmask_b32_e64 v20, v20, v125, s15
	v_cndmask_b32_e64 v18, v18, v126, s15
	s_delay_alu instid0(VALU_DEP_2) | instskip(NEXT) | instid1(VALU_DEP_2)
	;; [unrolled: 3-line block ×4, first 2 shown]
	v_cndmask_b32_e64 v20, v20, v55, s18
	v_cndmask_b32_e64 v18, v18, v15, s18
	s_delay_alu instid0(VALU_DEP_2) | instskip(SKIP_1) | instid1(VALU_DEP_3)
	v_cndmask_b32_e64 v156, v20, v201, s19
	v_cndmask_b32_e64 v20, v109, v104, s12
	;; [unrolled: 1-line block ×4, first 2 shown]
	s_delay_alu instid0(VALU_DEP_3) | instskip(NEXT) | instid1(VALU_DEP_3)
	v_cndmask_b32_e64 v20, v20, v148, s13
	v_add_f64 v[24:25], v[156:157], -v[154:155]
	s_delay_alu instid0(VALU_DEP_3) | instskip(NEXT) | instid1(VALU_DEP_2)
	v_cndmask_b32_e64 v18, v18, v149, s13
	v_div_scale_f64 v[26:27], null, v[24:25], v[24:25], v[22:23]
	s_delay_alu instid0(VALU_DEP_1) | instskip(SKIP_2) | instid1(VALU_DEP_1)
	v_rcp_f64_e32 v[28:29], v[26:27]
	s_waitcnt_depctr 0xfff
	v_fma_f64 v[30:31], -v[26:27], v[28:29], 1.0
	v_fma_f64 v[28:29], v[28:29], v[30:31], v[28:29]
	s_delay_alu instid0(VALU_DEP_1) | instskip(NEXT) | instid1(VALU_DEP_1)
	v_fma_f64 v[30:31], -v[26:27], v[28:29], 1.0
	v_fma_f64 v[28:29], v[28:29], v[30:31], v[28:29]
	v_div_scale_f64 v[30:31], vcc_lo, v[22:23], v[24:25], v[22:23]
	s_delay_alu instid0(VALU_DEP_1) | instskip(NEXT) | instid1(VALU_DEP_1)
	v_mul_f64 v[32:33], v[30:31], v[28:29]
	v_fma_f64 v[26:27], -v[26:27], v[32:33], v[30:31]
	s_delay_alu instid0(VALU_DEP_1) | instskip(SKIP_1) | instid1(VALU_DEP_2)
	v_div_fmas_f64 v[26:27], v[26:27], v[28:29], v[32:33]
	v_cmp_eq_u32_e32 vcc_lo, 8, v114
	v_div_fixup_f64 v[158:159], v[26:27], v[24:25], v[22:23]
	s_clause 0x7
	scratch_load_b128 v[21:24], off, off offset:2032
	scratch_load_b128 v[25:28], off, off offset:2048
	;; [unrolled: 1-line block ×8, first 2 shown]
	v_add_f64 v[160:161], -v[158:159], 1.0
	s_waitcnt vmcnt(6)
	v_dual_mov_b32 v16, v27 :: v_dual_mov_b32 v17, v28
	s_clause 0x7
	scratch_load_b128 v[21:24], off, off offset:1392
	scratch_load_b128 v[25:28], off, off offset:1408
	;; [unrolled: 1-line block ×8, first 2 shown]
	v_cndmask_b32_e64 v18, v18, v17, s14
	s_delay_alu instid0(VALU_DEP_1)
	v_cndmask_b32_e64 v18, v18, v151, s15
	s_waitcnt vmcnt(5)
	v_mov_b32_e32 v11, v32
	s_clause 0x7
	scratch_load_b128 v[21:24], off, off offset:1520
	scratch_load_b128 v[25:28], off, off offset:1536
	;; [unrolled: 1-line block ×8, first 2 shown]
	v_cndmask_b32_e64 v20, v20, v16, s14
	v_cndmask_b32_e64 v18, v18, v11, s16
	s_delay_alu instid0(VALU_DEP_2)
	v_cndmask_b32_e64 v20, v20, v150, s15
	s_waitcnt vmcnt(5)
	v_mov_b32_e32 v10, v31
	s_clause 0x7
	scratch_load_b128 v[21:24], off, off offset:1264
	scratch_load_b128 v[25:28], off, off offset:1280
	;; [unrolled: 1-line block ×8, first 2 shown]
	s_waitcnt vmcnt(4)
	v_mov_b32_e32 v13, v34
	s_clause 0x7
	scratch_load_b128 v[21:24], off, off offset:1648
	scratch_load_b128 v[25:28], off, off offset:1664
	;; [unrolled: 1-line block ×8, first 2 shown]
	v_cndmask_b32_e64 v20, v20, v10, s16
	v_cndmask_b32_e64 v18, v18, v13, s17
	s_waitcnt vmcnt(4)
	v_mov_b32_e32 v12, v33
	s_clause 0x7
	scratch_load_b128 v[21:24], off, off offset:1136
	scratch_load_b128 v[25:28], off, off offset:1152
	;; [unrolled: 1-line block ×8, first 2 shown]
	s_waitcnt vmcnt(4)
	v_mov_b32_e32 v57, v36
	s_clause 0x7
	scratch_load_b128 v[21:24], off, off offset:1776
	scratch_load_b128 v[25:28], off, off offset:1792
	;; [unrolled: 1-line block ×8, first 2 shown]
	v_cndmask_b32_e64 v20, v20, v12, s17
	v_cndmask_b32_e64 v18, v18, v57, s18
	s_waitcnt vmcnt(4)
	v_mov_b32_e32 v14, v35
	s_clause 0xf
	scratch_load_b128 v[21:24], off, off offset:1008
	scratch_load_b128 v[25:28], off, off offset:1024
	;; [unrolled: 1-line block ×16, first 2 shown]
	s_waitcnt vmcnt(11)
	v_mov_b32_e32 v19, v38
	v_cndmask_b32_e64 v20, v20, v14, s18
	s_waitcnt vmcnt(3)
	v_mov_b32_e32 v21, v74
	s_delay_alu instid0(VALU_DEP_3) | instskip(SKIP_1) | instid1(VALU_DEP_3)
	v_cndmask_b32_e64 v23, v18, v19, s19
	v_cndmask_b32_e64 v18, v110, v105, s2
	;; [unrolled: 1-line block ×4, first 2 shown]
	s_delay_alu instid0(VALU_DEP_3) | instskip(NEXT) | instid1(VALU_DEP_2)
	v_cndmask_b32_e64 v18, v18, v149, s3
	v_cndmask_b32_e64 v20, v20, v148, s3
	s_delay_alu instid0(VALU_DEP_2) | instskip(NEXT) | instid1(VALU_DEP_2)
	v_cndmask_b32_e64 v18, v18, v17, s4
	v_cndmask_b32_e64 v20, v20, v16, s4
	s_delay_alu instid0(VALU_DEP_2) | instskip(NEXT) | instid1(VALU_DEP_2)
	;; [unrolled: 3-line block ×6, first 2 shown]
	v_cndmask_b32_e64 v25, v18, v19, s11
	v_cndmask_b32_e64 v24, v20, v21, s11
	s_delay_alu instid0(VALU_DEP_1) | instskip(NEXT) | instid1(VALU_DEP_1)
	v_mul_f64 v[24:25], v[24:25], v[160:161]
	v_fma_f64 v[123:124], v[22:23], v[158:159], v[24:25]
	s_delay_alu instid0(VALU_DEP_1)
	v_cndmask_b32_e64 v132, v57, v124, s20
	s_clause 0x7
	scratch_load_b128 v[39:42], off, off offset:112
	scratch_load_b128 v[43:46], off, off offset:128
	;; [unrolled: 1-line block ×8, first 2 shown]
	v_cndmask_b32_e64 v130, v11, v124, s22
	v_cndmask_b32_e64 v129, v10, v123, s22
	;; [unrolled: 1-line block ×8, first 2 shown]
	v_dual_mov_b32 v151, v118 :: v_dual_mov_b32 v150, v117
	v_cndmask_b32_e64 v145, v16, v123, s8
	v_dual_cndmask_b32 v174, v21, v123 :: v_dual_cndmask_b32 v133, v19, v124
	s_delay_alu instid0(VALU_DEP_3) | instskip(NEXT) | instid1(VALU_DEP_4)
	v_cndmask_b32_e64 v28, v151, v108, s2
	v_cndmask_b32_e64 v29, v150, v107, s2
	s_delay_alu instid0(VALU_DEP_2) | instskip(NEXT) | instid1(VALU_DEP_2)
	v_cndmask_b32_e64 v28, v28, v153, s3
	v_cndmask_b32_e64 v29, v29, v152, s3
	s_waitcnt vmcnt(1)
	v_dual_mov_b32 v64, v46 :: v_dual_mov_b32 v63, v45
	s_clause 0xf
	scratch_load_b128 v[31:34], off, off offset:240
	scratch_load_b128 v[35:38], off, off offset:256
	;; [unrolled: 1-line block ×16, first 2 shown]
	s_waitcnt vmcnt(15)
	v_cndmask_b32_e64 v31, v150, v107, s12
	v_cndmask_b32_e64 v28, v28, v64, s4
	;; [unrolled: 1-line block ×3, first 2 shown]
	s_waitcnt vmcnt(12)
	v_cndmask_b32_e64 v45, v251, v253, s2
	v_cndmask_b32_e64 v31, v31, v152, s13
	s_delay_alu instid0(VALU_DEP_2) | instskip(NEXT) | instid1(VALU_DEP_2)
	v_cndmask_b32_e64 v45, v45, v245, s3
	v_cndmask_b32_e64 v31, v31, v63, s14
	s_delay_alu instid0(VALU_DEP_2) | instskip(NEXT) | instid1(VALU_DEP_1)
	v_cndmask_b32_e64 v45, v45, v175, s4
	v_cndmask_b32_e64 v45, v45, v135, s5
	;; [unrolled: 1-line block ×3, first 2 shown]
	s_waitcnt vmcnt(5)
	v_mov_b32_e32 v11, v76
	s_clause 0x7
	scratch_load_b128 v[65:68], off, off offset:2800
	scratch_load_b128 v[69:72], off, off offset:2816
	;; [unrolled: 1-line block ×8, first 2 shown]
	v_cndmask_b32_e64 v29, v29, v39, s5
	v_cndmask_b32_e64 v31, v31, v39, s15
	s_waitcnt vmcnt(5)
	v_mov_b32_e32 v10, v75
	s_clause 0x7
	scratch_load_b128 v[65:68], off, off offset:2288
	scratch_load_b128 v[69:72], off, off offset:2304
	scratch_load_b128 v[73:76], off, off offset:2320
	scratch_load_b128 v[77:80], off, off offset:2336
	scratch_load_b128 v[81:84], off, off offset:2352
	scratch_load_b128 v[85:88], off, off offset:2368
	scratch_load_b128 v[89:92], off, off offset:2384
	scratch_load_b128 v[93:96], off, off offset:2400
	v_cndmask_b32_e64 v28, v28, v11, s6
	v_cndmask_b32_e64 v29, v29, v10, s6
	v_cndmask_b32_e64 v31, v31, v10, s16
	s_waitcnt vmcnt(4)
	v_mov_b32_e32 v13, v78
	s_clause 0x7
	scratch_load_b128 v[65:68], off, off offset:2672
	scratch_load_b128 v[69:72], off, off offset:2688
	scratch_load_b128 v[73:76], off, off offset:2704
	scratch_load_b128 v[77:80], off, off offset:2720
	scratch_load_b128 v[81:84], off, off offset:2736
	scratch_load_b128 v[85:88], off, off offset:2752
	scratch_load_b128 v[89:92], off, off offset:2768
	scratch_load_b128 v[93:96], off, off offset:2784
	s_waitcnt vmcnt(4)
	v_mov_b32_e32 v12, v77
	s_clause 0x7
	scratch_load_b128 v[65:68], off, off offset:2160
	scratch_load_b128 v[69:72], off, off offset:2176
	scratch_load_b128 v[73:76], off, off offset:2192
	scratch_load_b128 v[77:80], off, off offset:2208
	scratch_load_b128 v[81:84], off, off offset:2224
	scratch_load_b128 v[85:88], off, off offset:2240
	scratch_load_b128 v[89:92], off, off offset:2256
	scratch_load_b128 v[93:96], off, off offset:2272
	v_cndmask_b32_e64 v28, v28, v13, s9
	v_cndmask_b32_e64 v29, v29, v12, s9
	v_cndmask_b32_e64 v31, v31, v12, s17
	s_waitcnt vmcnt(4)
	v_mov_b32_e32 v15, v80
	s_clause 0x7
	scratch_load_b128 v[65:68], off, off offset:2544
	scratch_load_b128 v[69:72], off, off offset:2560
	scratch_load_b128 v[73:76], off, off offset:2576
	scratch_load_b128 v[77:80], off, off offset:2592
	scratch_load_b128 v[81:84], off, off offset:2608
	scratch_load_b128 v[85:88], off, off offset:2624
	scratch_load_b128 v[89:92], off, off offset:2640
	scratch_load_b128 v[93:96], off, off offset:2656
	;; [unrolled: 25-line block ×3, first 2 shown]
	s_waitcnt vmcnt(3)
	v_mov_b32_e32 v16, v81
	v_cndmask_b32_e64 v29, v28, v17, s11
	s_clause 0x7
	scratch_load_b128 v[72:75], off, off offset:3824
	scratch_load_b128 v[76:79], off, off offset:3840
	;; [unrolled: 1-line block ×8, first 2 shown]
	s_waitcnt vmcnt(1)
	v_mov_b32_e32 v96, v169
	v_cndmask_b32_e64 v28, v30, v16, s11
	v_cndmask_b32_e64 v30, v151, v108, s12
	s_delay_alu instid0(VALU_DEP_2) | instskip(NEXT) | instid1(VALU_DEP_2)
	v_mul_f64 v[28:29], v[28:29], v[160:161]
	v_cndmask_b32_e64 v30, v30, v153, s13
	s_delay_alu instid0(VALU_DEP_1) | instskip(NEXT) | instid1(VALU_DEP_1)
	v_cndmask_b32_e64 v30, v30, v64, s14
	v_cndmask_b32_e64 v30, v30, v40, s15
	s_delay_alu instid0(VALU_DEP_1) | instskip(NEXT) | instid1(VALU_DEP_1)
	v_cndmask_b32_e64 v30, v30, v11, s16
	;; [unrolled: 3-line block ×3, first 2 shown]
	v_cndmask_b32_e64 v31, v30, v17, s19
	v_cndmask_b32_e64 v30, v32, v16, s19
	s_delay_alu instid0(VALU_DEP_1) | instskip(SKIP_2) | instid1(VALU_DEP_2)
	v_fma_f64 v[111:112], v[30:31], v[158:159], v[28:29]
	v_cndmask_b32_e64 v28, v252, v254, s2
	v_cmp_eq_u32_e64 s2, 6, v168
	v_cndmask_b32_e64 v28, v28, v246, s3
	v_cmp_eq_u32_e64 s3, 5, v168
	s_delay_alu instid0(VALU_DEP_2) | instskip(SKIP_1) | instid1(VALU_DEP_2)
	v_cndmask_b32_e64 v28, v28, v176, s4
	v_cmp_eq_u32_e64 s4, 7, v168
	v_cndmask_b32_e64 v28, v28, v136, s5
	v_cmp_eq_u32_e64 s5, 8, v168
	v_cndmask_b32_e64 v118, v63, v111, s8
	v_cndmask_b32_e64 v147, v64, v112, s8
	s_clause 0x7
	scratch_load_b128 v[46:49], off, off offset:624
	scratch_load_b128 v[50:53], off, off offset:640
	;; [unrolled: 1-line block ×8, first 2 shown]
	v_cndmask_b32_e32 v143, v17, v112, vcc_lo
	v_cndmask_b32_e32 v139, v16, v111, vcc_lo
	v_cndmask_b32_e64 v117, v39, v111, s7
	v_cndmask_b32_e64 v146, v40, v112, s7
	;; [unrolled: 1-line block ×9, first 2 shown]
	s_waitcnt vmcnt(0)
	v_mov_b32_e32 v75, v56
	s_delay_alu instid0(VALU_DEP_1)
	v_cndmask_b32_e64 v17, v45, v75, s6
	s_clause 0x7
	scratch_load_b128 v[41:44], off, off offset:3696
	scratch_load_b128 v[45:48], off, off offset:3712
	;; [unrolled: 1-line block ×8, first 2 shown]
	s_waitcnt vmcnt(3)
	v_mul_f64 v[56:57], v[154:155], v[160:161]
	v_cmp_eq_u32_e64 s6, 4, v168
	s_waitcnt vmcnt(1)
	s_delay_alu instid0(VALU_DEP_2) | instskip(NEXT) | instid1(VALU_DEP_1)
	v_fma_f64 v[67:68], v[156:157], v[158:159], v[56:57]
	v_cndmask_b32_e32 v58, v201, v67, vcc_lo
	v_cndmask_b32_e64 v57, v189, v67, s20
	v_cndmask_b32_e64 v56, v190, v67, s21
	s_delay_alu instid0(VALU_DEP_4)
	v_cndmask_b32_e64 v65, v186, v68, s20
	v_cndmask_b32_e64 v64, v187, v68, s21
	;; [unrolled: 1-line block ×7, first 2 shown]
	v_cndmask_b32_e32 v66, v106, v68, vcc_lo
	v_cndmask_b32_e64 v16, v28, v54, s9
	s_clause 0x7
	scratch_load_b128 v[18:21], off, off offset:496
	scratch_load_b128 v[22:25], off, off offset:512
	;; [unrolled: 1-line block ×8, first 2 shown]
	s_waitcnt vmcnt(4)
	v_mov_b32_e32 v53, v30
	s_clause 0x7
	scratch_load_b128 v[21:24], off, off offset:3568
	scratch_load_b128 v[25:28], off, off offset:3584
	;; [unrolled: 1-line block ×8, first 2 shown]
	v_cndmask_b32_e64 v17, v17, v53, s9
	v_cmp_eq_u32_e64 s9, 3, v168
	s_waitcnt vmcnt(0)
	v_mov_b32_e32 v50, v36
	s_clause 0x7
	scratch_load_b128 v[18:21], off, off offset:368
	scratch_load_b128 v[22:25], off, off offset:384
	;; [unrolled: 1-line block ×8, first 2 shown]
	s_waitcnt vmcnt(0)
	v_cndmask_b32_e64 v47, v251, v253, s12
	v_cndmask_b32_e64 v0, v16, v50, s10
	s_delay_alu instid0(VALU_DEP_2) | instskip(NEXT) | instid1(VALU_DEP_2)
	v_cndmask_b32_e64 v47, v47, v245, s13
	v_cndmask_b32_e64 v46, v0, v96, s11
	s_delay_alu instid0(VALU_DEP_2) | instskip(NEXT) | instid1(VALU_DEP_1)
	v_cndmask_b32_e64 v47, v47, v175, s14
	v_cndmask_b32_e64 v47, v47, v135, s15
	s_delay_alu instid0(VALU_DEP_1) | instskip(NEXT) | instid1(VALU_DEP_1)
	v_cndmask_b32_e64 v47, v47, v75, s16
	v_cndmask_b32_e64 v47, v47, v53, s17
	;; [unrolled: 1-line block ×3, first 2 shown]
	s_clause 0x7
	scratch_load_b128 v[0:3], off, off offset:3952
	scratch_load_b128 v[4:7], off, off offset:3968
	;; [unrolled: 1-line block ×8, first 2 shown]
	s_waitcnt vmcnt(0)
	v_cndmask_b32_e64 v28, v252, v254, s12
	v_cndmask_b32_e64 v47, v47, v32, s18
	v_cmp_eq_u32_e64 s10, 1, v170
	v_cmp_eq_u32_e64 s12, 5, v170
	s_delay_alu instid0(VALU_DEP_4) | instskip(SKIP_1) | instid1(VALU_DEP_2)
	v_cndmask_b32_e64 v28, v28, v246, s13
	v_cmp_eq_u32_e64 s13, 7, v170
	v_cndmask_b32_e64 v28, v28, v176, s14
	v_cmp_eq_u32_e64 s14, 4, v170
	s_delay_alu instid0(VALU_DEP_2) | instskip(SKIP_1) | instid1(VALU_DEP_2)
	v_cndmask_b32_e64 v28, v28, v136, s15
	v_cmp_eq_u32_e64 s15, 6, v170
	v_cndmask_b32_e64 v28, v28, v83, s16
	v_cmp_eq_u32_e64 s16, 8, v170
	s_delay_alu instid0(VALU_DEP_2) | instskip(SKIP_1) | instid1(VALU_DEP_2)
	v_cndmask_b32_e64 v28, v28, v54, s17
	v_cmp_eq_u32_e64 s17, 2, v168
	v_cndmask_b32_e64 v28, v28, v50, s18
	v_cmp_eq_u32_e64 s18, 3, v170
	s_delay_alu instid0(VALU_DEP_2)
	v_cndmask_b32_e64 v48, v28, v96, s19
	v_lshl_add_u32 v28, v114, 2, 16
	scratch_load_b32 v28, v28, off
	v_cndmask_b32_e64 v45, v45, v16, s11
	v_cndmask_b32_e64 v47, v47, v16, s19
	v_cmp_eq_u32_e64 s19, 1, v168
	v_cmp_eq_u32_e64 s11, 2, v170
	s_delay_alu instid0(VALU_DEP_4) | instskip(NEXT) | instid1(VALU_DEP_1)
	v_mul_f64 v[45:46], v[45:46], v[160:161]
	v_fma_f64 v[73:74], v[47:48], v[158:159], v[45:46]
	s_delay_alu instid0(VALU_DEP_1) | instskip(SKIP_2) | instid1(VALU_DEP_4)
	v_cndmask_b32_e32 v48, v16, v73, vcc_lo
	v_cndmask_b32_e64 v47, v32, v73, s20
	v_cndmask_b32_e64 v46, v53, v73, s21
	;; [unrolled: 1-line block ×4, first 2 shown]
	v_cmp_eq_u32_e64 s20, 1, v114
	v_cmp_eq_u32_e64 s21, 0, v114
	v_cndmask_b32_e64 v45, v75, v73, s22
	v_cndmask_b32_e64 v49, v83, v74, s22
	;; [unrolled: 1-line block ×3, first 2 shown]
	v_cmp_eq_u32_e64 s22, 2, v114
	v_cndmask_b32_e64 v92, v166, v67, s20
	v_cndmask_b32_e64 v93, v167, v68, s20
	;; [unrolled: 1-line block ×4, first 2 shown]
	v_cndmask_b32_e32 v55, v96, v74, vcc_lo
	v_cndmask_b32_e64 v96, v164, v67, s22
	v_cndmask_b32_e64 v44, v165, v68, s22
	;; [unrolled: 1-line block ×41, first 2 shown]
	s_waitcnt vmcnt(0)
	v_lshl_add_u32 v14, v28, 2, 16
	v_cndmask_b32_e64 v17, v17, v144, s14
	v_add_f64 v[67:68], -v[40:41], 0
	v_cndmask_b32_e64 v116, v253, v73, s20
	v_add_f64 v[75:76], v[50:51], -v[40:41]
	scratch_load_b32 v14, v14, off
	v_cndmask_b32_e64 v123, v251, v73, s21
	v_cndmask_b32_e64 v22, v254, v74, s20
	;; [unrolled: 1-line block ×11, first 2 shown]
	v_div_scale_f64 v[77:78], null, v[75:76], v[75:76], v[67:68]
	v_div_scale_f64 v[83:84], vcc_lo, v[67:68], v[75:76], v[67:68]
	s_delay_alu instid0(VALU_DEP_2) | instskip(SKIP_2) | instid1(VALU_DEP_1)
	v_rcp_f64_e32 v[79:80], v[77:78]
	s_waitcnt_depctr 0xfff
	v_fma_f64 v[81:82], -v[77:78], v[79:80], 1.0
	v_fma_f64 v[79:80], v[79:80], v[81:82], v[79:80]
	s_delay_alu instid0(VALU_DEP_1) | instskip(NEXT) | instid1(VALU_DEP_1)
	v_fma_f64 v[81:82], -v[77:78], v[79:80], 1.0
	v_fma_f64 v[79:80], v[79:80], v[81:82], v[79:80]
	s_delay_alu instid0(VALU_DEP_1) | instskip(NEXT) | instid1(VALU_DEP_1)
	v_mul_f64 v[81:82], v[83:84], v[79:80]
	v_fma_f64 v[77:78], -v[77:78], v[81:82], v[83:84]
	v_cndmask_b32_e64 v83, v151, v112, s21
	v_cndmask_b32_e64 v84, v135, v73, s7
	;; [unrolled: 1-line block ×3, first 2 shown]
	s_waitcnt vmcnt(0)
	scratch_store_b32 off, v14, off offset:108
	v_div_fmas_f64 v[77:78], v[77:78], v[79:80], v[81:82]
	v_cmp_eq_u32_e32 vcc_lo, 3, v28
	v_mov_b32_e32 v98, v105
	v_mov_b32_e32 v69, v149
	v_cndmask_b32_e64 v79, v107, v111, s20
	v_cndmask_b32_e64 v80, v150, v111, s21
	;; [unrolled: 1-line block ×9, first 2 shown]
	v_div_fixup_f64 v[67:68], v[77:78], v[75:76], v[67:68]
	v_cndmask_b32_e64 v76, v98, v124, s20
	v_cndmask_b32_e64 v77, v110, v124, s21
	;; [unrolled: 1-line block ×8, first 2 shown]
	s_delay_alu instid0(VALU_DEP_4) | instskip(SKIP_1) | instid1(VALU_DEP_4)
	v_cndmask_b32_e64 v111, v70, v78, s17
	v_cndmask_b32_e64 v70, v71, v81, s11
	;; [unrolled: 1-line block ×3, first 2 shown]
	s_delay_alu instid0(VALU_DEP_4)
	v_cndmask_b32_e64 v16, v16, v75, s11
	v_cndmask_b32_e64 v71, v72, v78, s11
	;; [unrolled: 1-line block ×25, first 2 shown]
	v_add_f64 v[6:7], -v[67:68], 1.0
	v_cndmask_b32_e64 v16, v16, v132, s13
	v_cndmask_b32_e64 v71, v71, v138, s13
	;; [unrolled: 1-line block ×16, first 2 shown]
	s_delay_alu instid0(VALU_DEP_3) | instskip(NEXT) | instid1(VALU_DEP_3)
	v_cndmask_b32_e64 v73, v73, v84, s6
	v_cndmask_b32_e64 v71, v74, v53, s13
	s_delay_alu instid0(VALU_DEP_3)
	v_cndmask_b32_e64 v74, v107, v47, s13
	v_cndmask_b32_e64 v107, v108, v121, s6
	;; [unrolled: 1-line block ×15, first 2 shown]
	s_delay_alu instid0(VALU_DEP_4)
	v_cndmask_b32_e64 v74, v74, v141, s2
	v_mul_f64 v[16:17], v[16:17], v[6:7]
	v_mul_f64 v[69:70], v[69:70], v[6:7]
	v_cndmask_b32_e64 v107, v107, v132, s4
	v_cndmask_b32_e64 v108, v108, v185, s4
	v_mul_f64 v[71:72], v[71:72], v[6:7]
	v_mul_f64 v[6:7], v[40:41], v[6:7]
	v_cndmask_b32_e64 v109, v109, v138, s4
	v_cndmask_b32_e64 v41, v107, v133, s5
	;; [unrolled: 1-line block ×6, first 2 shown]
	v_cmp_eq_u32_e64 s3, 2, v28
	v_fma_f64 v[73:74], v[40:41], v[67:68], v[16:17]
	s_delay_alu instid0(VALU_DEP_4) | instskip(SKIP_4) | instid1(VALU_DEP_4)
	v_cndmask_b32_e64 v17, v110, v143, s5
	v_cndmask_b32_e64 v16, v109, v139, s5
	v_cndmask_b32_e64 v40, v107, v52, s2
	v_cndmask_b32_e64 v41, v108, v46, s2
	v_cmp_eq_u32_e64 s2, 4, v28
	v_fma_f64 v[69:70], v[16:17], v[67:68], v[69:70]
	s_delay_alu instid0(VALU_DEP_4) | instskip(NEXT) | instid1(VALU_DEP_4)
	v_cndmask_b32_e64 v40, v40, v53, s4
	v_cndmask_b32_e64 v41, v41, v47, s4
	v_cmp_eq_u32_e64 s4, 1, v28
	s_delay_alu instid0(VALU_DEP_3) | instskip(NEXT) | instid1(VALU_DEP_3)
	v_cndmask_b32_e64 v17, v40, v55, s5
	v_cndmask_b32_e64 v16, v41, v48, s5
	v_cmp_eq_u32_e64 s5, 0, v28
	s_delay_alu instid0(VALU_DEP_2) | instskip(SKIP_1) | instid1(VALU_DEP_3)
	v_fma_f64 v[71:72], v[16:17], v[67:68], v[71:72]
	v_fma_f64 v[67:68], v[50:51], v[67:68], v[6:7]
	v_cndmask_b32_e64 v43, v77, v74, s5
	v_cndmask_b32_e32 v7, v122, v74, vcc_lo
	v_cndmask_b32_e64 v105, v76, v74, s4
	v_cndmask_b32_e64 v42, v91, v73, s5
	;; [unrolled: 1-line block ×7, first 2 shown]
	v_cndmask_b32_e32 v6, v145, v73, vcc_lo
	v_cndmask_b32_e64 v37, v146, v70, s2
	v_cndmask_b32_e64 v36, v117, v69, s2
	s_delay_alu instid0(VALU_DEP_4)
	v_dual_mov_b32 v112, v77 :: v_dual_mov_b32 v111, v76
	s_clause 0x7
	scratch_store_b128 off, v[0:3], off offset:2032
	scratch_store_b128 off, v[4:7], off offset:2048
	;; [unrolled: 1-line block ×8, first 2 shown]
	v_cndmask_b32_e64 v7, v75, v74, s3
	v_cndmask_b32_e64 v6, v89, v73, s3
	;; [unrolled: 1-line block ×4, first 2 shown]
	v_cndmask_b32_e32 v175, v115, v71, vcc_lo
	s_delay_alu instid0(VALU_DEP_4)
	v_dual_mov_b32 v101, v7 :: v_dual_mov_b32 v100, v6
	v_cndmask_b32_e64 v253, v116, v71, s4
	v_dual_cndmask_b32 v116, v88, v68 :: v_dual_cndmask_b32 v115, v87, v67
	v_cndmask_b32_e64 v136, v102, v72, s2
	v_cndmask_b32_e64 v135, v84, v71, s2
	;; [unrolled: 1-line block ×14, first 2 shown]
	s_clause 0x7
	scratch_store_b128 off, v[28:31], off offset:240
	scratch_store_b128 off, v[32:35], off offset:256
	;; [unrolled: 1-line block ×8, first 2 shown]
	v_dual_cndmask_b32 v40, v147, v70 :: v_dual_cndmask_b32 v39, v118, v69
	v_cndmask_b32_e32 v176, v103, v72, vcc_lo
	v_cndmask_b32_e64 v246, v21, v72, s3
	v_cndmask_b32_e64 v254, v22, v72, s4
	v_dual_mov_b32 v118, v90 :: v_dual_mov_b32 v117, v89
	s_clause 0x7
	scratch_store_b128 off, v[33:36], off offset:112
	scratch_store_b128 off, v[37:40], off offset:128
	;; [unrolled: 1-line block ×8, first 2 shown]
	v_cmp_eq_u32_e32 vcc_lo, 8, v28
	v_cmp_eq_u32_e64 s2, 7, v28
	v_cmp_eq_u32_e64 s4, 5, v28
	v_mov_b32_e32 v39, v114
	v_dual_cndmask_b32 v17, v133, v74 :: v_dual_cndmask_b32 v50, v66, v68
	v_cndmask_b32_e64 v165, v44, v68, s3
	v_cmp_eq_u32_e64 s3, 6, v28
	s_clause 0x7
	scratch_store_b128 off, v[0:3], off offset:1008
	scratch_store_b128 off, v[4:7], off offset:1024
	;; [unrolled: 1-line block ×8, first 2 shown]
	v_cndmask_b32_e32 v16, v174, v73, vcc_lo
	v_dual_mov_b32 v110, v43 :: v_dual_mov_b32 v109, v42
	v_cndmask_b32_e32 v169, v55, v72, vcc_lo
	v_cndmask_b32_e64 v55, v57, v67, s2
	v_cndmask_b32_e64 v56, v56, v67, s3
	;; [unrolled: 1-line block ×3, first 2 shown]
	s_clause 0x7
	scratch_store_b128 off, v[0:3], off offset:1904
	scratch_store_b128 off, v[4:7], off offset:1920
	scratch_store_b128 off, v[8:11], off offset:1936
	scratch_store_b128 off, v[12:15], off offset:1952
	scratch_store_b128 off, v[16:19], off offset:1968
	scratch_store_b128 off, v[20:23], off offset:1984
	scratch_store_b128 off, v[24:27], off offset:2000
	scratch_store_b128 off, v[28:31], off offset:2016
	v_cndmask_b32_e64 v15, v132, v74, s2
	s_clause 0x7
	scratch_store_b128 off, v[0:3], off offset:1136
	scratch_store_b128 off, v[4:7], off offset:1152
	scratch_store_b128 off, v[8:11], off offset:1168
	scratch_store_b128 off, v[12:15], off offset:1184
	scratch_store_b128 off, v[16:19], off offset:1200
	scratch_store_b128 off, v[20:23], off offset:1216
	scratch_store_b128 off, v[24:27], off offset:1232
	scratch_store_b128 off, v[28:31], off offset:1248
	v_cndmask_b32_e64 v14, v185, v73, s2
	;; [unrolled: 10-line block ×6, first 2 shown]
	s_clause 0x7
	scratch_store_b128 off, v[0:3], off offset:1520
	scratch_store_b128 off, v[4:7], off offset:1536
	scratch_store_b128 off, v[8:11], off offset:1552
	scratch_store_b128 off, v[12:15], off offset:1568
	scratch_store_b128 off, v[16:19], off offset:1584
	scratch_store_b128 off, v[20:23], off offset:1600
	scratch_store_b128 off, v[24:27], off offset:1616
	scratch_store_b128 off, v[28:31], off offset:1632
	v_cndmask_b32_e32 v17, v143, v70, vcc_lo
	s_clause 0x7
	scratch_store_b128 off, v[0:3], off offset:752
	scratch_store_b128 off, v[4:7], off offset:768
	scratch_store_b128 off, v[8:11], off offset:784
	scratch_store_b128 off, v[12:15], off offset:800
	scratch_store_b128 off, v[16:19], off offset:816
	scratch_store_b128 off, v[20:23], off offset:832
	scratch_store_b128 off, v[24:27], off offset:848
	scratch_store_b128 off, v[28:31], off offset:864
	v_cndmask_b32_e32 v16, v139, v69, vcc_lo
	s_clause 0x7
	scratch_store_b128 off, v[0:3], off offset:880
	scratch_store_b128 off, v[4:7], off offset:896
	scratch_store_b128 off, v[8:11], off offset:912
	scratch_store_b128 off, v[12:15], off offset:928
	scratch_store_b128 off, v[16:19], off offset:944
	scratch_store_b128 off, v[20:23], off offset:960
	scratch_store_b128 off, v[24:27], off offset:976
	scratch_store_b128 off, v[28:31], off offset:992
	v_cndmask_b32_e64 v15, v142, v70, s2
	s_clause 0x7
	scratch_store_b128 off, v[0:3], off offset:2160
	scratch_store_b128 off, v[4:7], off offset:2176
	scratch_store_b128 off, v[8:11], off offset:2192
	scratch_store_b128 off, v[12:15], off offset:2208
	scratch_store_b128 off, v[16:19], off offset:2224
	scratch_store_b128 off, v[20:23], off offset:2240
	scratch_store_b128 off, v[24:27], off offset:2256
	scratch_store_b128 off, v[28:31], off offset:2272
	v_cndmask_b32_e64 v14, v138, v69, s2
	;; [unrolled: 10-line block ×6, first 2 shown]
	s_clause 0x7
	scratch_store_b128 off, v[0:3], off offset:2800
	scratch_store_b128 off, v[4:7], off offset:2816
	;; [unrolled: 1-line block ×8, first 2 shown]
	v_cndmask_b32_e32 v16, v48, v71, vcc_lo
	s_clause 0x7
	scratch_store_b128 off, v[0:3], off offset:3952
	scratch_store_b128 off, v[4:7], off offset:3968
	;; [unrolled: 1-line block ×8, first 2 shown]
	v_cndmask_b32_e64 v18, v53, v72, s2
	v_cndmask_b32_e64 v53, v64, v68, s3
	s_clause 0x7
	scratch_store_b128 off, v[3:6], off offset:3568
	scratch_store_b128 off, v[7:10], off offset:3584
	scratch_store_b128 off, v[11:14], off offset:3600
	scratch_store_b128 off, v[15:18], off offset:3616
	scratch_store_b128 off, v[19:22], off offset:3632
	scratch_store_b128 off, v[23:26], off offset:3648
	scratch_store_b128 off, v[27:30], off offset:3664
	scratch_store_b128 off, v[31:34], off offset:3680
	v_cndmask_b32_e64 v14, v47, v71, s2
	s_clause 0x7
	scratch_store_b128 off, v[0:3], off offset:368
	scratch_store_b128 off, v[4:7], off offset:384
	scratch_store_b128 off, v[8:11], off offset:400
	scratch_store_b128 off, v[12:15], off offset:416
	scratch_store_b128 off, v[16:19], off offset:432
	scratch_store_b128 off, v[20:23], off offset:448
	scratch_store_b128 off, v[24:27], off offset:464
	scratch_store_b128 off, v[28:31], off offset:480
	;; [unrolled: 10-line block ×6, first 2 shown]
	v_cndmask_b32_e64 v11, v63, v68, s4
	v_cndmask_b32_e32 v201, v58, v67, vcc_lo
	v_cndmask_b32_e64 v15, v65, v68, s2
	s_delay_alu instid0(VALU_DEP_3)
	v_mov_b32_e32 v54, v11
.LBB4_108:
	s_or_b32 exec_lo, exec_lo, s26
	scratch_store_b32 off, v171, off offset:104
	s_and_saveexec_b32 s2, s0
	s_cbranch_execz .LBB4_117
; %bb.109:
	s_mov_b32 s3, 0
	s_branch .LBB4_111
.LBB4_110:                              ;   in Loop: Header=BB4_111 Depth=1
	s_or_b32 exec_lo, exec_lo, s4
	s_waitcnt vmcnt(0)
	v_cmp_gt_i32_e32 vcc_lo, 0, v14
	v_mov_b32_e32 v113, v14
	s_or_b32 s3, vcc_lo, s3
	s_delay_alu instid0(SALU_CYCLE_1)
	s_and_not1_b32 exec_lo, exec_lo, s3
	s_cbranch_execz .LBB4_117
.LBB4_111:                              ; =>This Inner Loop Header: Depth=1
	s_delay_alu instid0(VALU_DEP_1) | instskip(SKIP_4) | instid1(VALU_DEP_3)
	v_cmp_eq_u32_e32 vcc_lo, 1, v113
	v_cmp_eq_u32_e64 s0, 2, v113
	v_cndmask_b32_e32 v14, v249, v167, vcc_lo
	v_cndmask_b32_e32 v18, v248, v166, vcc_lo
	v_cmp_eq_u32_e32 vcc_lo, 3, v113
	v_cndmask_b32_e64 v14, v14, v165, s0
	s_delay_alu instid0(VALU_DEP_3) | instskip(SKIP_1) | instid1(VALU_DEP_2)
	v_cndmask_b32_e64 v18, v18, v164, s0
	s_mov_b32 s0, 0
	v_cndmask_b32_e32 v14, v14, v116, vcc_lo
	s_delay_alu instid0(VALU_DEP_2) | instskip(SKIP_1) | instid1(VALU_DEP_3)
	v_cndmask_b32_e32 v18, v18, v115, vcc_lo
	v_cmp_eq_u32_e32 vcc_lo, 4, v113
	v_cndmask_b32_e32 v14, v14, v126, vcc_lo
	s_delay_alu instid0(VALU_DEP_3) | instskip(SKIP_1) | instid1(VALU_DEP_3)
	v_cndmask_b32_e32 v18, v18, v125, vcc_lo
	v_cmp_eq_u32_e32 vcc_lo, 5, v113
	v_cndmask_b32_e32 v14, v14, v54, vcc_lo
	s_delay_alu instid0(VALU_DEP_3) | instskip(SKIP_1) | instid1(VALU_DEP_3)
	;; [unrolled: 4-line block ×4, first 2 shown]
	v_cndmask_b32_e32 v18, v18, v55, vcc_lo
	v_cmp_eq_u32_e32 vcc_lo, 8, v113
	v_cndmask_b32_e32 v19, v14, v50, vcc_lo
	s_delay_alu instid0(VALU_DEP_3) | instskip(NEXT) | instid1(VALU_DEP_1)
	v_cndmask_b32_e32 v18, v18, v201, vcc_lo
	v_cmp_ngt_f64_e32 vcc_lo, 0, v[18:19]
	v_lshl_add_u32 v19, v113, 2, 16
                                        ; implicit-def: $vgpr18
	scratch_load_b32 v14, v19, off
	s_and_saveexec_b32 s4, vcc_lo
	s_delay_alu instid0(SALU_CYCLE_1)
	s_xor_b32 s4, exec_lo, s4
	s_cbranch_execnz .LBB4_114
; %bb.112:                              ;   in Loop: Header=BB4_111 Depth=1
	s_and_not1_saveexec_b32 s4, s4
	s_cbranch_execnz .LBB4_115
.LBB4_113:                              ;   in Loop: Header=BB4_111 Depth=1
	s_or_b32 exec_lo, exec_lo, s4
	s_and_saveexec_b32 s4, s0
	s_cbranch_execz .LBB4_110
	s_branch .LBB4_116
.LBB4_114:                              ;   in Loop: Header=BB4_111 Depth=1
	scratch_load_b32 v18, off, off offset:104
                                        ; implicit-def: $vgpr19
	s_waitcnt vmcnt(0)
	v_cmp_eq_u32_e32 vcc_lo, -1, v18
	v_mov_b32_e32 v18, 0x68
	s_and_b32 s0, vcc_lo, exec_lo
	s_and_not1_saveexec_b32 s4, s4
	s_cbranch_execz .LBB4_113
.LBB4_115:                              ;   in Loop: Header=BB4_111 Depth=1
	scratch_load_b32 v20, off, off offset:108
	v_mov_b32_e32 v18, 0x6c
	s_or_b32 s0, s0, exec_lo
	s_waitcnt vmcnt(0)
	scratch_store_b32 v19, v20, off
	s_or_b32 exec_lo, exec_lo, s4
	s_and_saveexec_b32 s4, s0
	s_cbranch_execz .LBB4_110
.LBB4_116:                              ;   in Loop: Header=BB4_111 Depth=1
	scratch_store_b32 v18, v113, off
	s_branch .LBB4_110
.LBB4_117:
	s_or_b32 exec_lo, exec_lo, s2
	s_and_saveexec_b32 s0, s1
; %bb.118:
	v_max_f64 v[10:11], v[183:184], v[183:184]
	v_max_f64 v[12:13], v[162:163], v[162:163]
	s_delay_alu instid0(VALU_DEP_1) | instskip(SKIP_2) | instid1(VALU_DEP_3)
	v_min_f64 v[10:11], v[12:13], v[10:11]
	v_lshl_add_u32 v12, v127, 2, 16
	v_lshl_add_u32 v13, v39, 2, 16
	v_cmp_ngt_f64_e32 vcc_lo, 0, v[10:11]
	v_lshl_add_u32 v11, v28, 2, 16
	v_cndmask_b32_e32 v10, -1, v168, vcc_lo
	s_clause 0x2
	scratch_store_b32 v12, v39, off
	scratch_store_b32 v13, v28, off
	;; [unrolled: 1-line block ×3, first 2 shown]
; %bb.119:
	s_or_b32 exec_lo, exec_lo, s0
	scratch_load_b32 v10, off, off offset:104
	s_waitcnt vmcnt(0)
	v_cmp_lt_i32_e32 vcc_lo, -1, v10
	s_mov_b32 s8, exec_lo
	s_clause 0xf
	scratch_load_b128 v[33:36], off, off offset:112
	scratch_load_b128 v[37:40], off, off offset:128
	;; [unrolled: 1-line block ×16, first 2 shown]
	v_dual_mov_b32 v76, v111 :: v_dual_mov_b32 v77, v112
	v_dual_mov_b32 v89, v117 :: v_dual_mov_b32 v90, v118
	s_and_b32 s0, s8, vcc_lo
	s_waitcnt vmcnt(4)
	v_mov_b32_e32 v75, v55
	s_clause 0x7
	scratch_load_b128 v[41:44], off, off offset:496
	scratch_load_b128 v[45:48], off, off offset:512
	scratch_load_b128 v[49:52], off, off offset:528
	scratch_load_b128 v[53:56], off, off offset:544
	scratch_load_b128 v[57:60], off, off offset:560
	scratch_load_b128 v[61:64], off, off offset:576
	scratch_load_b128 v[65:68], off, off offset:592
	scratch_load_b128 v[69:72], off, off offset:608
	s_waitcnt vmcnt(4)
	v_mov_b32_e32 v78, v53
	s_clause 0x7
	scratch_load_b128 v[41:44], off, off offset:624
	scratch_load_b128 v[45:48], off, off offset:640
	scratch_load_b128 v[49:52], off, off offset:656
	scratch_load_b128 v[53:56], off, off offset:672
	scratch_load_b128 v[57:60], off, off offset:688
	scratch_load_b128 v[61:64], off, off offset:704
	scratch_load_b128 v[65:68], off, off offset:720
	scratch_load_b128 v[69:72], off, off offset:736
	;; [unrolled: 11-line block ×12, first 2 shown]
	s_waitcnt vmcnt(3)
	v_mov_b32_e32 v95, v57
	s_mov_b32 exec_lo, s0
	s_cbranch_execz .LBB4_123
; %bb.120:
	s_clause 0x7
	scratch_load_b128 v[41:44], off, off offset:240
	scratch_load_b128 v[45:48], off, off offset:256
	;; [unrolled: 1-line block ×8, first 2 shown]
	v_dual_mov_b32 v11, v10 :: v_dual_mov_b32 v96, v169
	v_dual_mov_b32 v8, v150 :: v_dual_mov_b32 v9, v151
	s_mov_b32 s9, 0
	s_waitcnt vmcnt(5)
	v_dual_mov_b32 v19, v49 :: v_dual_mov_b32 v20, v50
	s_clause 0x7
	scratch_load_b128 v[41:44], off, off offset:3568
	scratch_load_b128 v[45:48], off, off offset:3584
	scratch_load_b128 v[49:52], off, off offset:3600
	scratch_load_b128 v[53:56], off, off offset:3616
	scratch_load_b128 v[57:60], off, off offset:3632
	scratch_load_b128 v[61:64], off, off offset:3648
	scratch_load_b128 v[65:68], off, off offset:3664
	scratch_load_b128 v[69:72], off, off offset:3680
	s_waitcnt vmcnt(4)
	v_mov_b32_e32 v21, v56
	s_clause 0x7
	scratch_load_b128 v[41:44], off, off offset:3696
	scratch_load_b128 v[45:48], off, off offset:3712
	scratch_load_b128 v[49:52], off, off offset:3728
	scratch_load_b128 v[53:56], off, off offset:3744
	scratch_load_b128 v[57:60], off, off offset:3760
	scratch_load_b128 v[61:64], off, off offset:3776
	scratch_load_b128 v[65:68], off, off offset:3792
	scratch_load_b128 v[69:72], off, off offset:3808
	s_waitcnt vmcnt(4)
	v_mov_b32_e32 v16, v54
	;; [unrolled: 11-line block ×3, first 2 shown]
	s_clause 0x7
	scratch_load_b128 v[41:44], off, off offset:2032
	scratch_load_b128 v[45:48], off, off offset:2048
	;; [unrolled: 1-line block ×8, first 2 shown]
	s_waitcnt vmcnt(6)
	v_dual_mov_b32 v22, v47 :: v_dual_mov_b32 v23, v48
	s_clause 0x7
	scratch_load_b128 v[41:44], off, off offset:3952
	scratch_load_b128 v[45:48], off, off offset:3968
	scratch_load_b128 v[49:52], off, off offset:3984
	scratch_load_b128 v[53:56], off, off offset:4000
	scratch_load_b128 v[57:60], off, off offset:4016
	scratch_load_b128 v[61:64], off, off offset:4032
	scratch_load_b128 v[65:68], off, off offset:4048
	scratch_load_b128 v[69:72], off, off offset:4064
	s_waitcnt vmcnt(3)
	v_mov_b32_e32 v24, v57
	s_clause 0x7
	scratch_load_b128 v[41:44], off, off offset:2160
	scratch_load_b128 v[45:48], off, off offset:2176
	scratch_load_b128 v[49:52], off, off offset:2192
	scratch_load_b128 v[53:56], off, off offset:2208
	scratch_load_b128 v[57:60], off, off offset:2224
	scratch_load_b128 v[61:64], off, off offset:2240
	scratch_load_b128 v[65:68], off, off offset:2256
	scratch_load_b128 v[69:72], off, off offset:2272
	s_waitcnt vmcnt(4)
	v_mov_b32_e32 v25, v56
	;; [unrolled: 11-line block ×7, first 2 shown]
.LBB4_121:                              ; =>This Inner Loop Header: Depth=1
	v_cmp_eq_u32_e32 vcc_lo, 1, v11
	v_cmp_eq_u32_e64 s0, 2, v11
	v_cmp_eq_u32_e64 s1, 3, v11
	;; [unrolled: 1-line block ×8, first 2 shown]
	v_lshl_add_u32 v11, v11, 2, 16
	v_dual_mov_b32 v14, v100 :: v_dual_cndmask_b32 v13, v109, v104
	v_dual_cndmask_b32 v12, v110, v105 :: v_dual_mov_b32 v15, v101
	scratch_load_b32 v11, v11, off
	v_cndmask_b32_e64 v13, v13, v14, s0
	v_cndmask_b32_e64 v12, v12, v15, s0
	v_cndmask_b32_e32 v15, v89, v107, vcc_lo
	s_delay_alu instid0(VALU_DEP_3) | instskip(NEXT) | instid1(VALU_DEP_3)
	v_cndmask_b32_e64 v13, v13, v22, s1
	v_cndmask_b32_e64 v12, v12, v23, s1
	s_delay_alu instid0(VALU_DEP_3) | instskip(NEXT) | instid1(VALU_DEP_3)
	v_cndmask_b32_e64 v15, v15, v76, s0
	v_cndmask_b32_e64 v13, v13, v8, s2
	;; [unrolled: 3-line block ×7, first 2 shown]
	s_delay_alu instid0(VALU_DEP_3) | instskip(NEXT) | instid1(VALU_DEP_2)
	v_cndmask_b32_e64 v15, v15, v29, s4
	v_cndmask_b32_e64 v13, v12, v86, s6
	s_delay_alu instid0(VALU_DEP_4) | instskip(SKIP_1) | instid1(VALU_DEP_4)
	v_cndmask_b32_e64 v12, v14, v95, s6
	v_cndmask_b32_e32 v14, v90, v108, vcc_lo
	v_cndmask_b32_e64 v18, v15, v28, s5
	s_delay_alu instid0(VALU_DEP_3) | instskip(NEXT) | instid1(VALU_DEP_3)
	v_add_f64 v[12:13], -v[12:13], 1.0
	v_cndmask_b32_e64 v14, v14, v77, s0
	s_delay_alu instid0(VALU_DEP_1) | instskip(NEXT) | instid1(VALU_DEP_1)
	v_cndmask_b32_e64 v14, v14, v40, s1
	v_cndmask_b32_e64 v14, v14, v20, s2
	s_delay_alu instid0(VALU_DEP_1) | instskip(NEXT) | instid1(VALU_DEP_1)
	v_cndmask_b32_e64 v14, v14, v27, s3
	;; [unrolled: 3-line block ×3, first 2 shown]
	v_cndmask_b32_e64 v15, v14, v80, s6
	v_cndmask_b32_e64 v14, v18, v82, s6
	s_delay_alu instid0(VALU_DEP_1) | instskip(NEXT) | instid1(VALU_DEP_1)
	v_add_f64 v[12:13], v[12:13], -v[14:15]
	v_dual_cndmask_b32 v254, v254, v13 :: v_dual_cndmask_b32 v253, v253, v12
	v_cndmask_b32_e64 v96, v96, v13, s6
	v_cndmask_b32_e64 v24, v24, v12, s6
	;; [unrolled: 1-line block ×16, first 2 shown]
	s_waitcnt vmcnt(0)
	v_cmp_gt_i32_e32 vcc_lo, 0, v11
	s_or_b32 s9, vcc_lo, s9
	s_delay_alu instid0(SALU_CYCLE_1)
	s_and_not1_b32 exec_lo, exec_lo, s9
	s_cbranch_execnz .LBB4_121
; %bb.122:
	s_or_b32 exec_lo, exec_lo, s9
	v_mov_b32_e32 v169, v96
	s_clause 0x1f
	scratch_store_b128 off, v[8:11], off offset:3952
	scratch_store_b128 off, v[12:15], off offset:3968
	scratch_store_b128 off, v[16:19], off offset:3984
	scratch_store_b128 off, v[20:23], off offset:4000
	scratch_store_b128 off, v[24:27], off offset:4016
	scratch_store_b128 off, v[28:31], off offset:4032
	scratch_store_b128 off, v[32:35], off offset:4048
	scratch_store_b128 off, v[36:39], off offset:4064
	scratch_store_b128 off, v[6:9], off offset:3824
	scratch_store_b128 off, v[10:13], off offset:3840
	scratch_store_b128 off, v[14:17], off offset:3856
	scratch_store_b128 off, v[18:21], off offset:3872
	scratch_store_b128 off, v[22:25], off offset:3888
	scratch_store_b128 off, v[26:29], off offset:3904
	scratch_store_b128 off, v[30:33], off offset:3920
	scratch_store_b128 off, v[34:37], off offset:3936
	scratch_store_b128 off, v[3:6], off offset:3696
	scratch_store_b128 off, v[7:10], off offset:3712
	scratch_store_b128 off, v[11:14], off offset:3728
	scratch_store_b128 off, v[15:18], off offset:3744
	scratch_store_b128 off, v[19:22], off offset:3760
	scratch_store_b128 off, v[23:26], off offset:3776
	scratch_store_b128 off, v[27:30], off offset:3792
	scratch_store_b128 off, v[31:34], off offset:3808
	scratch_store_b128 off, v[6:9], off offset:3568
	scratch_store_b128 off, v[10:13], off offset:3584
	scratch_store_b128 off, v[14:17], off offset:3600
	scratch_store_b128 off, v[18:21], off offset:3616
	scratch_store_b128 off, v[22:25], off offset:3632
	scratch_store_b128 off, v[26:29], off offset:3648
	scratch_store_b128 off, v[30:33], off offset:3664
	scratch_store_b128 off, v[34:37], off offset:3680
.LBB4_123:
	s_or_b32 exec_lo, exec_lo, s8
	s_delay_alu instid0(SALU_CYCLE_1)
	s_mov_b32 s7, exec_lo
	v_cmpx_lt_i32_e32 -1, v10
	s_cbranch_execz .LBB4_129
; %bb.124:
	v_lshl_add_u32 v11, v10, 2, 16
	s_mov_b32 s8, exec_lo
	scratch_load_b32 v18, v11, off
	s_waitcnt vmcnt(0)
	v_lshl_add_u32 v11, v18, 2, 16
	scratch_load_b32 v34, v11, off
	s_waitcnt vmcnt(0)
	v_cmpx_lt_i32_e32 -1, v34
	s_cbranch_execz .LBB4_128
; %bb.125:
	s_clause 0x7
	scratch_load_b128 v[41:44], off, off offset:2032
	scratch_load_b128 v[45:48], off, off offset:2048
	;; [unrolled: 1-line block ×8, first 2 shown]
	v_cmp_eq_u32_e32 vcc_lo, 1, v10
	v_cmp_eq_u32_e64 s0, 2, v10
	v_cmp_eq_u32_e64 s1, 3, v10
	;; [unrolled: 1-line block ×3, first 2 shown]
	v_dual_mov_b32 v22, v100 :: v_dual_cndmask_b32 v11, v110, v105
	v_dual_mov_b32 v23, v101 :: v_dual_cndmask_b32 v12, v90, v108
	v_cndmask_b32_e32 v13, v89, v107, vcc_lo
	v_cmp_eq_u32_e64 s3, 5, v10
	v_cmp_eq_u32_e64 s4, 6, v10
	;; [unrolled: 1-line block ×3, first 2 shown]
	v_cndmask_b32_e64 v12, v12, v77, s0
	v_cndmask_b32_e64 v13, v13, v76, s0
	v_cmp_eq_u32_e64 s6, 8, v10
	v_dual_cndmask_b32 v15, v251, v253 :: v_dual_mov_b32 v96, v169
	s_delay_alu instid0(VALU_DEP_4) | instskip(NEXT) | instid1(VALU_DEP_4)
	v_cndmask_b32_e64 v12, v12, v40, s1
	v_cndmask_b32_e64 v13, v13, v39, s1
	s_mov_b32 s9, 0
	s_delay_alu instid0(VALU_DEP_3) | instskip(SKIP_2) | instid1(VALU_DEP_3)
	v_cndmask_b32_e64 v15, v15, v245, s0
	v_dual_mov_b32 v8, v150 :: v_dual_mov_b32 v9, v151
	v_cndmask_b32_e32 v10, v109, v104, vcc_lo
	v_cndmask_b32_e64 v15, v15, v175, s1
	s_delay_alu instid0(VALU_DEP_2) | instskip(NEXT) | instid1(VALU_DEP_2)
	v_cndmask_b32_e64 v10, v10, v22, s0
	v_cndmask_b32_e64 v15, v15, v135, s2
	s_delay_alu instid0(VALU_DEP_1) | instskip(NEXT) | instid1(VALU_DEP_1)
	v_cndmask_b32_e64 v15, v15, v79, s3
	v_cndmask_b32_e64 v15, v15, v78, s4
	s_delay_alu instid0(VALU_DEP_1)
	v_cndmask_b32_e64 v19, v15, v75, s5
	s_waitcnt vmcnt(6)
	v_dual_mov_b32 v74, v48 :: v_dual_mov_b32 v73, v47
	s_clause 0xf
	scratch_load_b128 v[41:44], off, off offset:240
	scratch_load_b128 v[45:48], off, off offset:256
	;; [unrolled: 1-line block ×16, first 2 shown]
	v_cndmask_b32_e64 v11, v11, v23, s0
	v_cndmask_b32_e64 v10, v10, v73, s1
	s_delay_alu instid0(VALU_DEP_2) | instskip(NEXT) | instid1(VALU_DEP_2)
	v_cndmask_b32_e64 v11, v11, v74, s1
	v_cndmask_b32_e64 v10, v10, v8, s2
	s_delay_alu instid0(VALU_DEP_2) | instskip(NEXT) | instid1(VALU_DEP_2)
	;; [unrolled: 3-line block ×5, first 2 shown]
	v_cndmask_b32_e64 v11, v11, v87, s5
	v_cndmask_b32_e64 v10, v10, v95, s6
	s_delay_alu instid0(VALU_DEP_2)
	v_cndmask_b32_e64 v11, v11, v86, s6
	s_waitcnt vmcnt(9)
	v_dual_mov_b32 v68, v50 :: v_dual_mov_b32 v67, v49
	s_waitcnt vmcnt(5)
	v_mov_b32_e32 v81, v148
	s_clause 0x7
	scratch_load_b128 v[137:140], off, off offset:2800
	scratch_load_b128 v[141:144], off, off offset:2816
	;; [unrolled: 1-line block ×8, first 2 shown]
	v_cndmask_b32_e64 v12, v12, v68, s2
	v_cndmask_b32_e64 v13, v13, v67, s2
	s_waitcnt vmcnt(5)
	v_mov_b32_e32 v85, v147
	s_clause 0x7
	scratch_load_b128 v[137:140], off, off offset:2288
	scratch_load_b128 v[141:144], off, off offset:2304
	;; [unrolled: 1-line block ×8, first 2 shown]
	s_waitcnt vmcnt(4)
	v_mov_b32_e32 v72, v150
	s_clause 0x7
	scratch_load_b128 v[137:140], off, off offset:2672
	scratch_load_b128 v[141:144], off, off offset:2688
	;; [unrolled: 1-line block ×8, first 2 shown]
	v_cndmask_b32_e64 v12, v12, v81, s3
	s_delay_alu instid0(VALU_DEP_1)
	v_cndmask_b32_e64 v12, v12, v72, s4
	s_waitcnt vmcnt(4)
	v_mov_b32_e32 v84, v149
	s_clause 0x7
	scratch_load_b128 v[137:140], off, off offset:2160
	scratch_load_b128 v[141:144], off, off offset:2176
	;; [unrolled: 1-line block ×8, first 2 shown]
	v_cndmask_b32_e64 v13, v13, v85, s3
	s_delay_alu instid0(VALU_DEP_1)
	v_cndmask_b32_e64 v13, v13, v84, s4
	s_waitcnt vmcnt(4)
	v_mov_b32_e32 v71, v152
	s_clause 0x7
	scratch_load_b128 v[137:140], off, off offset:2544
	scratch_load_b128 v[141:144], off, off offset:2560
	;; [unrolled: 1-line block ×8, first 2 shown]
	s_waitcnt vmcnt(4)
	v_mov_b32_e32 v83, v151
	s_clause 0x7
	scratch_load_b128 v[137:140], off, off offset:3824
	scratch_load_b128 v[141:144], off, off offset:3840
	;; [unrolled: 1-line block ×8, first 2 shown]
	v_cndmask_b32_e64 v14, v13, v83, s5
	s_waitcnt vmcnt(5)
	v_mov_b32_e32 v17, v148
	s_clause 0x7
	scratch_load_b128 v[137:140], off, off offset:3696
	scratch_load_b128 v[141:144], off, off offset:3712
	;; [unrolled: 1-line block ×8, first 2 shown]
	s_waitcnt vmcnt(4)
	v_mov_b32_e32 v16, v150
	s_clause 0x7
	scratch_load_b128 v[137:140], off, off offset:3568
	scratch_load_b128 v[141:144], off, off offset:3584
	;; [unrolled: 1-line block ×8, first 2 shown]
	v_cndmask_b32_e64 v12, v12, v71, s5
	s_delay_alu instid0(VALU_DEP_1) | instskip(SKIP_3) | instid1(VALU_DEP_2)
	v_cndmask_b32_e64 v13, v12, v80, s6
	v_cndmask_b32_e64 v12, v14, v82, s6
	v_cndmask_b32_e32 v14, v252, v254, vcc_lo
	v_cmp_eq_u32_e32 vcc_lo, 1, v18
	v_cndmask_b32_e64 v14, v14, v246, s0
	v_cmp_eq_u32_e64 s0, 2, v18
	v_dual_cndmask_b32 v20, v110, v105 :: v_dual_cndmask_b32 v21, v109, v104
	s_delay_alu instid0(VALU_DEP_3) | instskip(SKIP_1) | instid1(VALU_DEP_3)
	v_cndmask_b32_e64 v14, v14, v176, s1
	v_cmp_eq_u32_e64 s1, 3, v18
	v_cndmask_b32_e64 v20, v20, v23, s0
	s_delay_alu instid0(VALU_DEP_4) | instskip(NEXT) | instid1(VALU_DEP_4)
	v_cndmask_b32_e64 v21, v21, v22, s0
	v_cndmask_b32_e64 v14, v14, v136, s2
	v_cmp_eq_u32_e64 s2, 4, v18
	s_delay_alu instid0(VALU_DEP_4) | instskip(NEXT) | instid1(VALU_DEP_4)
	v_cndmask_b32_e64 v20, v20, v74, s1
	v_cndmask_b32_e64 v21, v21, v73, s1
	s_delay_alu instid0(VALU_DEP_2) | instskip(NEXT) | instid1(VALU_DEP_2)
	v_cndmask_b32_e64 v20, v20, v9, s2
	v_cndmask_b32_e64 v21, v21, v8, s2
	s_waitcnt vmcnt(4)
	v_mov_b32_e32 v69, v152
	s_clause 0x7
	scratch_load_b128 v[137:140], off, off offset:3952
	scratch_load_b128 v[141:144], off, off offset:3968
	;; [unrolled: 1-line block ×8, first 2 shown]
	s_waitcnt vmcnt(3)
	v_mov_b32_e32 v70, v153
	v_cndmask_b32_e64 v14, v14, v17, s3
	v_cmp_eq_u32_e64 s3, 5, v18
	s_delay_alu instid0(VALU_DEP_2) | instskip(SKIP_1) | instid1(VALU_DEP_3)
	v_cndmask_b32_e64 v14, v14, v16, s4
	v_cmp_eq_u32_e64 s4, 6, v18
	v_cndmask_b32_e64 v20, v20, v91, s3
	v_cndmask_b32_e64 v21, v21, v92, s3
	s_delay_alu instid0(VALU_DEP_4) | instskip(SKIP_1) | instid1(VALU_DEP_4)
	v_cndmask_b32_e64 v14, v14, v69, s5
	v_cmp_eq_u32_e64 s5, 7, v18
	v_cndmask_b32_e64 v20, v20, v88, s4
	s_delay_alu instid0(VALU_DEP_4) | instskip(NEXT) | instid1(VALU_DEP_4)
	v_cndmask_b32_e64 v21, v21, v93, s4
	v_cndmask_b32_e64 v15, v14, v96, s6
	v_cndmask_b32_e64 v14, v19, v70, s6
	v_cndmask_b32_e32 v19, v90, v108, vcc_lo
	v_cmp_eq_u32_e64 s6, 8, v18
	v_cndmask_b32_e32 v18, v89, v107, vcc_lo
	v_cndmask_b32_e64 v20, v20, v87, s5
	v_cndmask_b32_e64 v21, v21, v94, s5
	v_mul_f64 v[22:23], v[12:13], v[14:15]
	v_mul_f64 v[24:25], v[14:15], v[14:15]
	v_cndmask_b32_e64 v18, v18, v76, s0
	v_cndmask_b32_e64 v27, v20, v86, s6
	v_cndmask_b32_e32 v20, v252, v254, vcc_lo
	v_cndmask_b32_e64 v19, v19, v77, s0
	v_cndmask_b32_e64 v26, v21, v95, s6
	v_cndmask_b32_e32 v21, v251, v253, vcc_lo
	v_cndmask_b32_e64 v18, v18, v39, s1
	v_cndmask_b32_e64 v20, v20, v246, s0
	;; [unrolled: 1-line block ×3, first 2 shown]
	v_add_f64 v[30:31], v[26:27], -v[10:11]
	v_cndmask_b32_e64 v21, v21, v245, s0
	v_cndmask_b32_e64 v18, v18, v67, s2
	;; [unrolled: 1-line block ×4, first 2 shown]
	s_delay_alu instid0(VALU_DEP_4) | instskip(NEXT) | instid1(VALU_DEP_4)
	v_cndmask_b32_e64 v21, v21, v175, s1
	v_cndmask_b32_e64 v18, v18, v85, s3
	s_delay_alu instid0(VALU_DEP_4) | instskip(NEXT) | instid1(VALU_DEP_4)
	v_cndmask_b32_e64 v20, v20, v136, s2
	v_cndmask_b32_e64 v19, v19, v81, s3
	;; [unrolled: 3-line block ×8, first 2 shown]
	s_delay_alu instid0(VALU_DEP_4) | instskip(NEXT) | instid1(VALU_DEP_3)
	v_cndmask_b32_e64 v21, v21, v75, s5
	v_cndmask_b32_e64 v29, v20, v96, s6
	s_delay_alu instid0(VALU_DEP_3) | instskip(NEXT) | instid1(VALU_DEP_3)
	v_add_f64 v[32:33], v[18:19], -v[12:13]
	v_cndmask_b32_e64 v28, v21, v70, s6
	v_mul_f64 v[20:21], v[10:11], v[14:15]
.LBB4_126:                              ; =>This Inner Loop Header: Depth=1
	v_cmp_eq_u32_e32 vcc_lo, 1, v34
	v_mov_b32_e32 v37, v100
	v_cmp_eq_u32_e64 s0, 2, v34
	v_cmp_eq_u32_e64 s1, 3, v34
	;; [unrolled: 1-line block ×3, first 2 shown]
	v_dual_cndmask_b32 v36, v109, v104 :: v_dual_cndmask_b32 v35, v110, v105
	v_mov_b32_e32 v38, v101
	v_cmp_eq_u32_e64 s3, 5, v34
	v_cmp_eq_u32_e64 s4, 6, v34
	s_delay_alu instid0(VALU_DEP_4)
	v_cndmask_b32_e64 v36, v36, v37, s0
	v_cmp_eq_u32_e64 s5, 7, v34
	v_cndmask_b32_e64 v35, v35, v38, s0
	v_cmp_eq_u32_e64 s6, 8, v34
	s_waitcnt vmcnt(5)
	v_fma_f64 v[45:46], v[28:29], v[28:29], v[24:25]
	v_cndmask_b32_e64 v36, v36, v73, s1
	s_waitcnt vmcnt(4)
	v_add_f64 v[47:48], v[14:15], v[28:29]
	v_cndmask_b32_e64 v35, v35, v74, s1
	v_cndmask_b32_e32 v38, v89, v107, vcc_lo
	v_cndmask_b32_e64 v36, v36, v8, s2
	s_delay_alu instid0(VALU_DEP_3) | instskip(NEXT) | instid1(VALU_DEP_3)
	v_cndmask_b32_e64 v35, v35, v9, s2
	v_cndmask_b32_e64 v38, v38, v76, s0
	s_delay_alu instid0(VALU_DEP_3) | instskip(NEXT) | instid1(VALU_DEP_3)
	v_cndmask_b32_e64 v36, v36, v92, s3
	;; [unrolled: 3-line block ×5, first 2 shown]
	v_cndmask_b32_e64 v35, v35, v87, s5
	s_delay_alu instid0(VALU_DEP_3) | instskip(NEXT) | instid1(VALU_DEP_2)
	v_cndmask_b32_e64 v38, v38, v85, s3
	v_cndmask_b32_e64 v36, v35, v86, s6
	s_delay_alu instid0(VALU_DEP_4) | instskip(SKIP_1) | instid1(VALU_DEP_4)
	v_cndmask_b32_e64 v35, v37, v95, s6
	v_cndmask_b32_e32 v37, v90, v108, vcc_lo
	v_cndmask_b32_e64 v38, v38, v84, s4
	s_delay_alu instid0(VALU_DEP_2) | instskip(NEXT) | instid1(VALU_DEP_2)
	v_cndmask_b32_e64 v37, v37, v77, s0
	v_cndmask_b32_e64 v39, v38, v83, s5
	s_delay_alu instid0(VALU_DEP_2) | instskip(NEXT) | instid1(VALU_DEP_1)
	v_cndmask_b32_e64 v37, v37, v40, s1
	v_cndmask_b32_e64 v37, v37, v68, s2
	s_delay_alu instid0(VALU_DEP_1) | instskip(NEXT) | instid1(VALU_DEP_1)
	v_cndmask_b32_e64 v37, v37, v81, s3
	v_cndmask_b32_e64 v37, v37, v72, s4
	s_delay_alu instid0(VALU_DEP_1) | instskip(NEXT) | instid1(VALU_DEP_1)
	v_cndmask_b32_e64 v37, v37, v71, s5
	v_cndmask_b32_e64 v38, v37, v80, s6
	;; [unrolled: 1-line block ×3, first 2 shown]
	v_add_f64 v[39:40], v[35:36], -v[10:11]
	s_delay_alu instid0(VALU_DEP_2) | instskip(NEXT) | instid1(VALU_DEP_2)
	v_add_f64 v[41:42], v[37:38], -v[12:13]
	v_mul_f64 v[32:33], v[39:40], v[32:33]
	s_delay_alu instid0(VALU_DEP_1) | instskip(SKIP_1) | instid1(VALU_DEP_1)
	v_fma_f64 v[30:31], v[41:42], v[30:31], -v[32:33]
	v_dual_cndmask_b32 v32, v252, v254 :: v_dual_cndmask_b32 v33, v251, v253
	v_cndmask_b32_e64 v32, v32, v246, s0
	s_delay_alu instid0(VALU_DEP_2) | instskip(NEXT) | instid1(VALU_DEP_2)
	v_cndmask_b32_e64 v33, v33, v245, s0
	v_cndmask_b32_e64 v32, v32, v176, s1
	s_delay_alu instid0(VALU_DEP_2) | instskip(NEXT) | instid1(VALU_DEP_2)
	v_cndmask_b32_e64 v33, v33, v175, s1
	;; [unrolled: 3-line block ×6, first 2 shown]
	v_cndmask_b32_e64 v44, v32, v96, s6
	s_delay_alu instid0(VALU_DEP_2) | instskip(SKIP_2) | instid1(VALU_DEP_3)
	v_cndmask_b32_e64 v43, v33, v70, s6
	v_add_f64 v[32:33], v[10:11], v[26:27]
	v_fma_f64 v[26:27], v[26:27], v[28:29], v[20:21]
	v_fma_f64 v[45:46], v[43:44], v[43:44], v[45:46]
	v_add_f64 v[47:48], v[43:44], v[47:48]
	s_delay_alu instid0(VALU_DEP_4) | instskip(NEXT) | instid1(VALU_DEP_4)
	v_add_f64 v[32:33], v[32:33], v[35:36]
	v_fma_f64 v[26:27], v[43:44], v[35:36], v[26:27]
	s_delay_alu instid0(VALU_DEP_4) | instskip(NEXT) | instid1(VALU_DEP_4)
	v_fma_f64 v[45:46], v[14:15], v[28:29], v[45:46]
	v_fma_f64 v[181:182], v[47:48], v[30:31], v[181:182]
	v_mul_f64 v[47:48], v[47:48], v[30:31]
	s_delay_alu instid0(VALU_DEP_3) | instskip(NEXT) | instid1(VALU_DEP_2)
	v_fma_f64 v[45:46], v[14:15], v[43:44], v[45:46]
	v_mul_f64 v[32:33], v[32:33], v[47:48]
	s_delay_alu instid0(VALU_DEP_2) | instskip(SKIP_2) | instid1(VALU_DEP_4)
	v_fma_f64 v[45:46], v[43:44], v[28:29], v[45:46]
	v_fma_f64 v[28:29], v[18:19], v[28:29], v[22:23]
	v_add_f64 v[18:19], v[12:13], v[18:19]
	v_fma_f64 v[26:27], v[26:27], v[30:31], v[32:33]
	v_dual_mov_b32 v32, v41 :: v_dual_mov_b32 v33, v42
	v_fma_f64 v[172:173], v[30:31], v[45:46], v[172:173]
	v_fma_f64 v[28:29], v[43:44], v[37:38], v[28:29]
	v_add_f64 v[18:19], v[37:38], v[18:19]
	v_add_f64 v[179:180], v[179:180], v[26:27]
	v_dual_mov_b32 v26, v35 :: v_dual_mov_b32 v27, v36
	s_delay_alu instid0(VALU_DEP_3) | instskip(NEXT) | instid1(VALU_DEP_1)
	v_mul_f64 v[18:19], v[18:19], v[47:48]
	v_fma_f64 v[18:19], v[28:29], v[30:31], v[18:19]
	v_dual_mov_b32 v30, v39 :: v_dual_mov_b32 v31, v40
	v_dual_mov_b32 v28, v43 :: v_dual_mov_b32 v29, v44
	s_delay_alu instid0(VALU_DEP_3)
	v_add_f64 v[177:178], v[177:178], v[18:19]
	v_lshl_add_u32 v18, v34, 2, 16
	scratch_load_b32 v34, v18, off
	v_dual_mov_b32 v18, v37 :: v_dual_mov_b32 v19, v38
	s_clause 0x7
	scratch_load_b128 v[35:38], off, off offset:112
	scratch_load_b128 v[39:42], off, off offset:128
	;; [unrolled: 1-line block ×8, first 2 shown]
	s_waitcnt vmcnt(8)
	v_cmp_gt_i32_e32 vcc_lo, 0, v34
	s_waitcnt vmcnt(6)
	v_dual_mov_b32 v39, v41 :: v_dual_mov_b32 v40, v42
	s_or_b32 s9, vcc_lo, s9
	s_delay_alu instid0(SALU_CYCLE_1)
	s_and_not1_b32 exec_lo, exec_lo, s9
	s_cbranch_execnz .LBB4_126
; %bb.127:
	s_or_b32 exec_lo, exec_lo, s9
.LBB4_128:
	s_delay_alu instid0(SALU_CYCLE_1)
	s_or_b32 exec_lo, exec_lo, s8
.LBB4_129:
	s_delay_alu instid0(SALU_CYCLE_1)
	s_or_b32 exec_lo, exec_lo, s7
	s_movk_i32 s2, 0x1168
	s_mov_b32 s1, 0x3fc55555
	scratch_load_b64 v[8:9], off, s2        ; 8-byte Folded Reload
	s_movk_i32 s2, 0x1178
	s_mov_b32 s0, 0x55555555
	scratch_load_b64 v[10:11], off, s2      ; 8-byte Folded Reload
	s_movk_i32 s2, 0x1170
	v_mul_f64 v[6:7], v[181:182], s[0:1]
	scratch_load_b64 v[12:13], off, s2      ; 8-byte Folded Reload
	s_mov_b32 s1, 0x3fa55555
	s_movk_i32 s2, 0x1118
	v_mul_f64 v[4:5], v[179:180], s[0:1]
	v_mul_f64 v[2:3], v[177:178], s[0:1]
	;; [unrolled: 1-line block ×3, first 2 shown]
	s_movk_i32 s0, 0x1158
	s_waitcnt vmcnt(2)
	s_delay_alu instid0(VALU_DEP_3)
	v_mul_f64 v[8:9], v[8:9], v[4:5]
	s_waitcnt vmcnt(1)
	v_mul_f64 v[10:11], v[10:11], v[4:5]
	s_waitcnt vmcnt(0)
	v_mul_f64 v[4:5], v[12:13], v[4:5]
	scratch_load_b64 v[12:13], off, s2      ; 8-byte Folded Reload
	s_movk_i32 s2, 0x1120
	s_waitcnt vmcnt(0)
	v_fma_f64 v[8:9], v[12:13], v[6:7], v[8:9]
	scratch_load_b128 v[12:15], off, s2     ; 16-byte Folded Reload
	s_movk_i32 s2, 0x1130
	s_waitcnt vmcnt(0)
	v_fma_f64 v[10:11], v[14:15], v[6:7], v[10:11]
	scratch_load_b128 v[12:15], off, s2     ; 16-byte Folded Reload
	scratch_load_b64 v[12:13], off, s0      ; 8-byte Folded Reload
	s_movk_i32 s0, 0x1150
	v_fma_f64 v[10:11], v[119:120], v[2:3], v[10:11]
	s_waitcnt vmcnt(1)
	v_fma_f64 v[4:5], v[14:15], v[6:7], v[4:5]
	s_waitcnt vmcnt(0)
	v_fma_f64 v[8:9], v[12:13], v[2:3], v[8:9]
	scratch_load_b64 v[12:13], off, s0      ; 8-byte Folded Reload
	s_movk_i32 s0, 0x1160
	s_waitcnt vmcnt(0)
	v_fma_f64 v[2:3], v[12:13], v[2:3], v[4:5]
	scratch_load_b64 v[4:5], off, s0        ; 8-byte Folded Reload
	s_movk_i32 s0, 0x1140
	s_waitcnt vmcnt(0)
	v_fma_f64 v[4:5], v[4:5], v[0:1], v[8:9]
	scratch_load_b64 v[8:9], off, s0        ; 8-byte Folded Reload
	s_movk_i32 s0, 0x1148
	s_waitcnt vmcnt(0)
	v_fma_f64 v[8:9], v[8:9], v[0:1], v[10:11]
	scratch_load_b64 v[10:11], off, s0      ; 8-byte Folded Reload
	s_movk_i32 s0, 0x1180
	s_waitcnt vmcnt(0)
	v_fma_f64 v[0:1], v[10:11], v[0:1], v[2:3]
	scratch_load_b64 v[10:11], off, s0      ; 8-byte Folded Reload
	s_movk_i32 s0, 0x1108
	scratch_load_b32 v35, off, s0           ; 4-byte Folded Reload
	s_movk_i32 s0, 0x110c
	scratch_load_b32 v14, off, s0           ; 4-byte Folded Reload
	s_movk_i32 s0, 0x1110
	scratch_load_b64 v[26:27], off, s0      ; 8-byte Folded Reload
	s_waitcnt vmcnt(3)
	v_mul_f64 v[2:3], v[10:11], v[4:5]
	v_mul_f64 v[4:5], v[10:11], v[8:9]
	;; [unrolled: 1-line block ×4, first 2 shown]
	s_delay_alu instid0(VALU_DEP_4) | instskip(NEXT) | instid1(VALU_DEP_4)
	v_add_f64 v[22:23], v[2:3], 0
	v_add_f64 v[20:21], v[4:5], 0
	s_delay_alu instid0(VALU_DEP_4) | instskip(NEXT) | instid1(VALU_DEP_4)
	v_add_f64 v[18:19], v[0:1], 0
	v_add_f64 v[24:25], v[6:7], 0
.LBB4_130:
	s_or_b32 exec_lo, exec_lo, s23
	s_waitcnt vmcnt(0)
	v_mad_u64_u32 v[12:13], null, 0x48, v26, 0
	v_mov_b32_e32 v4, 0
	v_dual_mov_b32 v8, v22 :: v_dual_mov_b32 v9, v23
	v_dual_mov_b32 v10, v20 :: v_dual_mov_b32 v11, v21
	s_delay_alu instid0(VALU_DEP_4) | instskip(NEXT) | instid1(VALU_DEP_1)
	v_dual_mov_b32 v5, 0 :: v_dual_mov_b32 v0, v13
	v_dual_mov_b32 v17, v5 :: v_dual_mov_b32 v16, v4
	s_delay_alu instid0(VALU_DEP_2) | instskip(SKIP_3) | instid1(VALU_DEP_4)
	v_mad_u64_u32 v[6:7], null, 0x48, v27, v[0:1]
	v_dual_mov_b32 v1, v14 :: v_dual_and_b32 v0, 0xffffffc0, v35
	v_dual_mov_b32 v2, v24 :: v_dual_mov_b32 v3, v25
	v_dual_mov_b32 v14, v18 :: v_dual_mov_b32 v15, v19
	v_mov_b32_e32 v13, v6
	v_dual_mov_b32 v7, v5 :: v_dual_mov_b32 v6, v4
	s_delay_alu instid0(VALU_DEP_2)
	v_cmp_gt_i64_e32 vcc_lo, v[12:13], v[0:1]
	v_dual_mov_b32 v13, v5 :: v_dual_mov_b32 v12, v4
	s_and_saveexec_b32 s0, vcc_lo
; %bb.131:
	v_mov_b32_e32 v2, 0
	v_dual_mov_b32 v3, 0 :: v_dual_mov_b32 v4, v18
	v_dual_mov_b32 v5, v19 :: v_dual_mov_b32 v6, v20
	;; [unrolled: 1-line block ×3, first 2 shown]
	v_mov_b32_e32 v13, v23
	s_delay_alu instid0(VALU_DEP_4)
	v_dual_mov_b32 v9, v3 :: v_dual_mov_b32 v8, v2
	v_dual_mov_b32 v11, v3 :: v_dual_mov_b32 v10, v2
	;; [unrolled: 1-line block ×4, first 2 shown]
; %bb.132:
	s_or_b32 exec_lo, exec_lo, s0
	v_mbcnt_lo_u32_b32 v18, -1, 0
	s_mov_b64 s[0:1], 1
	s_waitcnt_vscnt null, 0x0
	s_barrier
	buffer_gl0_inv
.LBB4_133:                              ; =>This Inner Loop Header: Depth=1
	v_xor_b32_e32 v19, s0, v18
	v_cmp_gt_u64_e64 s2, s[0:1], 31
	s_lshl_b64 s[0:1], s[0:1], 1
	s_delay_alu instid0(VALU_DEP_2) | instskip(SKIP_1) | instid1(VALU_DEP_3)
	v_cmp_gt_i32_e32 vcc_lo, 32, v19
	v_cndmask_b32_e32 v19, v18, v19, vcc_lo
	s_and_b32 vcc_lo, exec_lo, s2
	s_delay_alu instid0(VALU_DEP_1)
	v_lshlrev_b32_e32 v34, 2, v19
	ds_bpermute_b32 v19, v34, v16
	ds_bpermute_b32 v20, v34, v17
	;; [unrolled: 1-line block ×16, first 2 shown]
	s_waitcnt lgkmcnt(14)
	v_add_f64 v[16:17], v[16:17], v[19:20]
	s_waitcnt lgkmcnt(12)
	v_add_f64 v[12:13], v[12:13], v[21:22]
	;; [unrolled: 2-line block ×8, first 2 shown]
	s_cbranch_vccz .LBB4_133
; %bb.134:
	v_dual_mov_b32 v19, 0 :: v_dual_and_b32 v18, 63, v35
	s_mov_b32 s0, exec_lo
	s_delay_alu instid0(VALU_DEP_1)
	v_cmpx_eq_u64_e32 0, v[18:19]
	s_cbranch_execz .LBB4_136
; %bb.135:
	ds_store_2addr_b64 v19, v[2:3], v[8:9] offset1:2
	ds_store_2addr_b64 v19, v[10:11], v[14:15] offset0:4 offset1:6
	ds_store_2addr_b64 v19, v[16:17], v[12:13] offset0:8 offset1:10
	ds_store_2addr_b64 v19, v[6:7], v[4:5] offset0:12 offset1:14
.LBB4_136:
	s_or_b32 exec_lo, exec_lo, s0
	v_cmp_gt_u64_e32 vcc_lo, 8, v[18:19]
	s_waitcnt lgkmcnt(0)
	s_barrier
	buffer_gl0_inv
	s_and_b32 exec_lo, exec_lo, vcc_lo
	s_cbranch_execz .LBB4_138
; %bb.137:
	v_lshlrev_b32_e32 v2, 4, v18
	v_lshlrev_b32_e32 v4, 3, v18
	v_add_co_u32 v0, vcc_lo, s24, v0
	v_add_co_ci_u32_e32 v1, vcc_lo, s25, v1, vcc_lo
	ds_load_b64 v[2:3], v2
	v_add_co_u32 v0, vcc_lo, v0, v4
	v_add_co_ci_u32_e32 v1, vcc_lo, 0, v1, vcc_lo
	s_waitcnt lgkmcnt(0)
	global_store_b64 v[0:1], v[2:3], off
.LBB4_138:
	s_nop 0
	s_sendmsg sendmsg(MSG_DEALLOC_VGPRS)
	s_endpgm
	.section	.rodata,"a",@progbits
	.p2align	6, 0x0
	.amdhsa_kernel _ZN4RAJA6policy3hip4impl18forallp_hip_kernelINS1_8hip_execINS_17iteration_mapping6DirectENS_3hip11IndexGlobalILNS_9named_dimE0ELi64ELi0EEENS7_40AvoidDeviceMaxThreadOccupancyConcretizerINS7_34FractionOffsetOccupancyConcretizerINS_8FractionImLm1ELm1EEELln1EEEEELb1EEENS_9Iterators16numeric_iteratorIllPlEEZN8rajaperf4apps12INTSC_HEXHEX17runHipVariantImplILm64EEEvNSM_9VariantIDEEUllE1_lNS_4expt15ForallParamPackIJEEES6_SA_TnNSt9enable_ifIXaasr3std10is_base_ofINS5_10DirectBaseET4_EE5valuegtsrT5_10block_sizeLi0EEmE4typeELm64EEEvT1_T0_T2_T3_
		.amdhsa_group_segment_fixed_size 128
		.amdhsa_private_segment_fixed_size 4496
		.amdhsa_kernarg_size 52
		.amdhsa_user_sgpr_count 15
		.amdhsa_user_sgpr_dispatch_ptr 0
		.amdhsa_user_sgpr_queue_ptr 0
		.amdhsa_user_sgpr_kernarg_segment_ptr 1
		.amdhsa_user_sgpr_dispatch_id 0
		.amdhsa_user_sgpr_private_segment_size 0
		.amdhsa_wavefront_size32 1
		.amdhsa_uses_dynamic_stack 0
		.amdhsa_enable_private_segment 1
		.amdhsa_system_sgpr_workgroup_id_x 1
		.amdhsa_system_sgpr_workgroup_id_y 0
		.amdhsa_system_sgpr_workgroup_id_z 0
		.amdhsa_system_sgpr_workgroup_info 0
		.amdhsa_system_vgpr_workitem_id 0
		.amdhsa_next_free_vgpr 256
		.amdhsa_next_free_sgpr 28
		.amdhsa_reserve_vcc 1
		.amdhsa_float_round_mode_32 0
		.amdhsa_float_round_mode_16_64 0
		.amdhsa_float_denorm_mode_32 3
		.amdhsa_float_denorm_mode_16_64 3
		.amdhsa_dx10_clamp 1
		.amdhsa_ieee_mode 1
		.amdhsa_fp16_overflow 0
		.amdhsa_workgroup_processor_mode 1
		.amdhsa_memory_ordered 1
		.amdhsa_forward_progress 0
		.amdhsa_shared_vgpr_count 0
		.amdhsa_exception_fp_ieee_invalid_op 0
		.amdhsa_exception_fp_denorm_src 0
		.amdhsa_exception_fp_ieee_div_zero 0
		.amdhsa_exception_fp_ieee_overflow 0
		.amdhsa_exception_fp_ieee_underflow 0
		.amdhsa_exception_fp_ieee_inexact 0
		.amdhsa_exception_int_div_zero 0
	.end_amdhsa_kernel
	.section	.text._ZN4RAJA6policy3hip4impl18forallp_hip_kernelINS1_8hip_execINS_17iteration_mapping6DirectENS_3hip11IndexGlobalILNS_9named_dimE0ELi64ELi0EEENS7_40AvoidDeviceMaxThreadOccupancyConcretizerINS7_34FractionOffsetOccupancyConcretizerINS_8FractionImLm1ELm1EEELln1EEEEELb1EEENS_9Iterators16numeric_iteratorIllPlEEZN8rajaperf4apps12INTSC_HEXHEX17runHipVariantImplILm64EEEvNSM_9VariantIDEEUllE1_lNS_4expt15ForallParamPackIJEEES6_SA_TnNSt9enable_ifIXaasr3std10is_base_ofINS5_10DirectBaseET4_EE5valuegtsrT5_10block_sizeLi0EEmE4typeELm64EEEvT1_T0_T2_T3_,"axG",@progbits,_ZN4RAJA6policy3hip4impl18forallp_hip_kernelINS1_8hip_execINS_17iteration_mapping6DirectENS_3hip11IndexGlobalILNS_9named_dimE0ELi64ELi0EEENS7_40AvoidDeviceMaxThreadOccupancyConcretizerINS7_34FractionOffsetOccupancyConcretizerINS_8FractionImLm1ELm1EEELln1EEEEELb1EEENS_9Iterators16numeric_iteratorIllPlEEZN8rajaperf4apps12INTSC_HEXHEX17runHipVariantImplILm64EEEvNSM_9VariantIDEEUllE1_lNS_4expt15ForallParamPackIJEEES6_SA_TnNSt9enable_ifIXaasr3std10is_base_ofINS5_10DirectBaseET4_EE5valuegtsrT5_10block_sizeLi0EEmE4typeELm64EEEvT1_T0_T2_T3_,comdat
.Lfunc_end4:
	.size	_ZN4RAJA6policy3hip4impl18forallp_hip_kernelINS1_8hip_execINS_17iteration_mapping6DirectENS_3hip11IndexGlobalILNS_9named_dimE0ELi64ELi0EEENS7_40AvoidDeviceMaxThreadOccupancyConcretizerINS7_34FractionOffsetOccupancyConcretizerINS_8FractionImLm1ELm1EEELln1EEEEELb1EEENS_9Iterators16numeric_iteratorIllPlEEZN8rajaperf4apps12INTSC_HEXHEX17runHipVariantImplILm64EEEvNSM_9VariantIDEEUllE1_lNS_4expt15ForallParamPackIJEEES6_SA_TnNSt9enable_ifIXaasr3std10is_base_ofINS5_10DirectBaseET4_EE5valuegtsrT5_10block_sizeLi0EEmE4typeELm64EEEvT1_T0_T2_T3_, .Lfunc_end4-_ZN4RAJA6policy3hip4impl18forallp_hip_kernelINS1_8hip_execINS_17iteration_mapping6DirectENS_3hip11IndexGlobalILNS_9named_dimE0ELi64ELi0EEENS7_40AvoidDeviceMaxThreadOccupancyConcretizerINS7_34FractionOffsetOccupancyConcretizerINS_8FractionImLm1ELm1EEELln1EEEEELb1EEENS_9Iterators16numeric_iteratorIllPlEEZN8rajaperf4apps12INTSC_HEXHEX17runHipVariantImplILm64EEEvNSM_9VariantIDEEUllE1_lNS_4expt15ForallParamPackIJEEES6_SA_TnNSt9enable_ifIXaasr3std10is_base_ofINS5_10DirectBaseET4_EE5valuegtsrT5_10block_sizeLi0EEmE4typeELm64EEEvT1_T0_T2_T3_
                                        ; -- End function
	.section	.AMDGPU.csdata,"",@progbits
; Kernel info:
; codeLenInByte = 75708
; NumSgprs: 30
; NumVgprs: 256
; ScratchSize: 4496
; MemoryBound: 0
; FloatMode: 240
; IeeeMode: 1
; LDSByteSize: 128 bytes/workgroup (compile time only)
; SGPRBlocks: 3
; VGPRBlocks: 31
; NumSGPRsForWavesPerEU: 30
; NumVGPRsForWavesPerEU: 256
; Occupancy: 5
; WaveLimiterHint : 0
; COMPUTE_PGM_RSRC2:SCRATCH_EN: 1
; COMPUTE_PGM_RSRC2:USER_SGPR: 15
; COMPUTE_PGM_RSRC2:TRAP_HANDLER: 0
; COMPUTE_PGM_RSRC2:TGID_X_EN: 1
; COMPUTE_PGM_RSRC2:TGID_Y_EN: 0
; COMPUTE_PGM_RSRC2:TGID_Z_EN: 0
; COMPUTE_PGM_RSRC2:TIDIG_COMP_CNT: 0
	.section	.text._ZN4RAJA6policy3hip4impl18forallp_hip_kernelINS1_8hip_execINS_17iteration_mapping6DirectENS_3hip11IndexGlobalILNS_9named_dimE0ELi64ELi0EEENS7_40AvoidDeviceMaxThreadOccupancyConcretizerINS7_34FractionOffsetOccupancyConcretizerINS_8FractionImLm1ELm1EEELln1EEEEELb1EEENS_9Iterators16numeric_iteratorIllPlEEZN8rajaperf4apps12INTSC_HEXHEX17runHipVariantImplILm64EEEvNSM_9VariantIDEEUllE2_lNS_4expt15ForallParamPackIJEEES6_SA_TnNSt9enable_ifIXaasr3std10is_base_ofINS5_10DirectBaseET4_EE5valuegtsrT5_10block_sizeLi0EEmE4typeELm64EEEvT1_T0_T2_T3_,"axG",@progbits,_ZN4RAJA6policy3hip4impl18forallp_hip_kernelINS1_8hip_execINS_17iteration_mapping6DirectENS_3hip11IndexGlobalILNS_9named_dimE0ELi64ELi0EEENS7_40AvoidDeviceMaxThreadOccupancyConcretizerINS7_34FractionOffsetOccupancyConcretizerINS_8FractionImLm1ELm1EEELln1EEEEELb1EEENS_9Iterators16numeric_iteratorIllPlEEZN8rajaperf4apps12INTSC_HEXHEX17runHipVariantImplILm64EEEvNSM_9VariantIDEEUllE2_lNS_4expt15ForallParamPackIJEEES6_SA_TnNSt9enable_ifIXaasr3std10is_base_ofINS5_10DirectBaseET4_EE5valuegtsrT5_10block_sizeLi0EEmE4typeELm64EEEvT1_T0_T2_T3_,comdat
	.protected	_ZN4RAJA6policy3hip4impl18forallp_hip_kernelINS1_8hip_execINS_17iteration_mapping6DirectENS_3hip11IndexGlobalILNS_9named_dimE0ELi64ELi0EEENS7_40AvoidDeviceMaxThreadOccupancyConcretizerINS7_34FractionOffsetOccupancyConcretizerINS_8FractionImLm1ELm1EEELln1EEEEELb1EEENS_9Iterators16numeric_iteratorIllPlEEZN8rajaperf4apps12INTSC_HEXHEX17runHipVariantImplILm64EEEvNSM_9VariantIDEEUllE2_lNS_4expt15ForallParamPackIJEEES6_SA_TnNSt9enable_ifIXaasr3std10is_base_ofINS5_10DirectBaseET4_EE5valuegtsrT5_10block_sizeLi0EEmE4typeELm64EEEvT1_T0_T2_T3_ ; -- Begin function _ZN4RAJA6policy3hip4impl18forallp_hip_kernelINS1_8hip_execINS_17iteration_mapping6DirectENS_3hip11IndexGlobalILNS_9named_dimE0ELi64ELi0EEENS7_40AvoidDeviceMaxThreadOccupancyConcretizerINS7_34FractionOffsetOccupancyConcretizerINS_8FractionImLm1ELm1EEELln1EEEEELb1EEENS_9Iterators16numeric_iteratorIllPlEEZN8rajaperf4apps12INTSC_HEXHEX17runHipVariantImplILm64EEEvNSM_9VariantIDEEUllE2_lNS_4expt15ForallParamPackIJEEES6_SA_TnNSt9enable_ifIXaasr3std10is_base_ofINS5_10DirectBaseET4_EE5valuegtsrT5_10block_sizeLi0EEmE4typeELm64EEEvT1_T0_T2_T3_
	.globl	_ZN4RAJA6policy3hip4impl18forallp_hip_kernelINS1_8hip_execINS_17iteration_mapping6DirectENS_3hip11IndexGlobalILNS_9named_dimE0ELi64ELi0EEENS7_40AvoidDeviceMaxThreadOccupancyConcretizerINS7_34FractionOffsetOccupancyConcretizerINS_8FractionImLm1ELm1EEELln1EEEEELb1EEENS_9Iterators16numeric_iteratorIllPlEEZN8rajaperf4apps12INTSC_HEXHEX17runHipVariantImplILm64EEEvNSM_9VariantIDEEUllE2_lNS_4expt15ForallParamPackIJEEES6_SA_TnNSt9enable_ifIXaasr3std10is_base_ofINS5_10DirectBaseET4_EE5valuegtsrT5_10block_sizeLi0EEmE4typeELm64EEEvT1_T0_T2_T3_
	.p2align	8
	.type	_ZN4RAJA6policy3hip4impl18forallp_hip_kernelINS1_8hip_execINS_17iteration_mapping6DirectENS_3hip11IndexGlobalILNS_9named_dimE0ELi64ELi0EEENS7_40AvoidDeviceMaxThreadOccupancyConcretizerINS7_34FractionOffsetOccupancyConcretizerINS_8FractionImLm1ELm1EEELln1EEEEELb1EEENS_9Iterators16numeric_iteratorIllPlEEZN8rajaperf4apps12INTSC_HEXHEX17runHipVariantImplILm64EEEvNSM_9VariantIDEEUllE2_lNS_4expt15ForallParamPackIJEEES6_SA_TnNSt9enable_ifIXaasr3std10is_base_ofINS5_10DirectBaseET4_EE5valuegtsrT5_10block_sizeLi0EEmE4typeELm64EEEvT1_T0_T2_T3_,@function
_ZN4RAJA6policy3hip4impl18forallp_hip_kernelINS1_8hip_execINS_17iteration_mapping6DirectENS_3hip11IndexGlobalILNS_9named_dimE0ELi64ELi0EEENS7_40AvoidDeviceMaxThreadOccupancyConcretizerINS7_34FractionOffsetOccupancyConcretizerINS_8FractionImLm1ELm1EEELln1EEEEELb1EEENS_9Iterators16numeric_iteratorIllPlEEZN8rajaperf4apps12INTSC_HEXHEX17runHipVariantImplILm64EEEvNSM_9VariantIDEEUllE2_lNS_4expt15ForallParamPackIJEEES6_SA_TnNSt9enable_ifIXaasr3std10is_base_ofINS5_10DirectBaseET4_EE5valuegtsrT5_10block_sizeLi0EEmE4typeELm64EEEvT1_T0_T2_T3_: ; @_ZN4RAJA6policy3hip4impl18forallp_hip_kernelINS1_8hip_execINS_17iteration_mapping6DirectENS_3hip11IndexGlobalILNS_9named_dimE0ELi64ELi0EEENS7_40AvoidDeviceMaxThreadOccupancyConcretizerINS7_34FractionOffsetOccupancyConcretizerINS_8FractionImLm1ELm1EEELln1EEEEELb1EEENS_9Iterators16numeric_iteratorIllPlEEZN8rajaperf4apps12INTSC_HEXHEX17runHipVariantImplILm64EEEvNSM_9VariantIDEEUllE2_lNS_4expt15ForallParamPackIJEEES6_SA_TnNSt9enable_ifIXaasr3std10is_base_ofINS5_10DirectBaseET4_EE5valuegtsrT5_10block_sizeLi0EEmE4typeELm64EEEvT1_T0_T2_T3_
; %bb.0:
	s_load_b64 s[4:5], s[0:1], 0x20
	s_mov_b32 s2, s15
	s_mov_b32 s3, 0
	s_delay_alu instid0(SALU_CYCLE_1) | instskip(NEXT) | instid1(SALU_CYCLE_1)
	s_lshl_b64 s[2:3], s[2:3], 6
	v_or_b32_e32 v0, s2, v0
	v_mov_b32_e32 v1, s3
	s_mov_b32 s2, exec_lo
	s_waitcnt lgkmcnt(0)
	s_delay_alu instid0(VALU_DEP_1)
	v_cmpx_gt_i64_e64 s[4:5], v[0:1]
	s_cbranch_execz .LBB5_17
; %bb.1:
	s_load_b256 s[0:7], s[0:1], 0x0
	s_waitcnt lgkmcnt(0)
	v_add_co_u32 v2, vcc_lo, v0, s6
	v_add_co_ci_u32_e32 v3, vcc_lo, s7, v1, vcc_lo
	s_delay_alu instid0(VALU_DEP_2) | instskip(NEXT) | instid1(VALU_DEP_2)
	v_mad_u64_u32 v[0:1], null, 0x240, v2, s[2:3]
	v_lshlrev_b64 v[6:7], 8, v[2:3]
	v_lshlrev_b64 v[4:5], 3, v[2:3]
	s_delay_alu instid0(VALU_DEP_3) | instskip(NEXT) | instid1(VALU_DEP_3)
	v_mad_u64_u32 v[8:9], null, 0x240, v3, v[1:2]
	v_add_co_u32 v2, vcc_lo, s0, v6
	s_delay_alu instid0(VALU_DEP_4) | instskip(SKIP_1) | instid1(VALU_DEP_3)
	v_add_co_ci_u32_e32 v3, vcc_lo, s1, v7, vcc_lo
	s_mov_b32 s0, exec_lo
	v_mov_b32_e32 v1, v8
	v_cmpx_gt_u64_e64 s[4:5], v[4:5]
	s_cbranch_execz .LBB5_3
; %bb.2:
	s_clause 0x1
	global_load_b64 v[6:7], v[0:1], off
	global_load_b64 v[8:9], v[0:1], off offset:64
	s_waitcnt vmcnt(0)
	v_add_f64 v[6:7], v[6:7], v[8:9]
	global_store_b64 v[2:3], v[6:7], off
	s_clause 0x1
	global_load_b64 v[6:7], v[0:1], off offset:8
	global_load_b64 v[8:9], v[0:1], off offset:72
	s_waitcnt vmcnt(0)
	v_add_f64 v[6:7], v[6:7], v[8:9]
	global_store_b64 v[2:3], v[6:7], off offset:8
	s_clause 0x1
	global_load_b64 v[6:7], v[0:1], off offset:16
	global_load_b64 v[8:9], v[0:1], off offset:80
	s_waitcnt vmcnt(0)
	v_add_f64 v[6:7], v[6:7], v[8:9]
	global_store_b64 v[2:3], v[6:7], off offset:16
	;; [unrolled: 6-line block ×3, first 2 shown]
.LBB5_3:
	s_or_b32 exec_lo, exec_lo, s0
	v_or_b32_e32 v6, 1, v4
	v_mov_b32_e32 v7, v5
	s_mov_b32 s0, exec_lo
	s_delay_alu instid0(VALU_DEP_1)
	v_cmpx_gt_u64_e64 s[4:5], v[6:7]
	s_cbranch_execz .LBB5_5
; %bb.4:
	s_clause 0x1
	global_load_b64 v[6:7], v[0:1], off offset:96
	global_load_b64 v[8:9], v[0:1], off offset:128
	s_waitcnt vmcnt(0)
	v_add_f64 v[6:7], v[6:7], v[8:9]
	global_store_b64 v[2:3], v[6:7], off offset:32
	s_clause 0x1
	global_load_b64 v[6:7], v[0:1], off offset:104
	global_load_b64 v[8:9], v[0:1], off offset:136
	s_waitcnt vmcnt(0)
	v_add_f64 v[6:7], v[6:7], v[8:9]
	global_store_b64 v[2:3], v[6:7], off offset:40
	s_clause 0x1
	global_load_b64 v[6:7], v[0:1], off offset:112
	global_load_b64 v[8:9], v[0:1], off offset:144
	s_waitcnt vmcnt(0)
	v_add_f64 v[6:7], v[6:7], v[8:9]
	global_store_b64 v[2:3], v[6:7], off offset:48
	s_clause 0x1
	global_load_b64 v[6:7], v[0:1], off offset:120
	global_load_b64 v[8:9], v[0:1], off offset:152
	s_waitcnt vmcnt(0)
	v_add_f64 v[6:7], v[6:7], v[8:9]
	global_store_b64 v[2:3], v[6:7], off offset:56
.LBB5_5:
	s_or_b32 exec_lo, exec_lo, s0
	v_or_b32_e32 v6, 2, v4
	v_mov_b32_e32 v7, v5
	s_mov_b32 s0, exec_lo
	s_delay_alu instid0(VALU_DEP_1)
	v_cmpx_gt_u64_e64 s[4:5], v[6:7]
	s_cbranch_execz .LBB5_7
; %bb.6:
	s_clause 0x1
	global_load_b64 v[6:7], v[0:1], off offset:160
	global_load_b64 v[8:9], v[0:1], off offset:192
	s_waitcnt vmcnt(0)
	v_add_f64 v[6:7], v[6:7], v[8:9]
	global_store_b64 v[2:3], v[6:7], off offset:64
	s_clause 0x1
	global_load_b64 v[6:7], v[0:1], off offset:168
	global_load_b64 v[8:9], v[0:1], off offset:200
	s_waitcnt vmcnt(0)
	v_add_f64 v[6:7], v[6:7], v[8:9]
	global_store_b64 v[2:3], v[6:7], off offset:72
	s_clause 0x1
	global_load_b64 v[6:7], v[0:1], off offset:176
	global_load_b64 v[8:9], v[0:1], off offset:208
	s_waitcnt vmcnt(0)
	v_add_f64 v[6:7], v[6:7], v[8:9]
	global_store_b64 v[2:3], v[6:7], off offset:80
	s_clause 0x1
	global_load_b64 v[6:7], v[0:1], off offset:184
	global_load_b64 v[8:9], v[0:1], off offset:216
	s_waitcnt vmcnt(0)
	v_add_f64 v[6:7], v[6:7], v[8:9]
	global_store_b64 v[2:3], v[6:7], off offset:88
.LBB5_7:
	;; [unrolled: 33-line block ×6, first 2 shown]
	s_or_b32 exec_lo, exec_lo, s0
	v_or_b32_e32 v4, 7, v4
	s_delay_alu instid0(VALU_DEP_1)
	v_cmp_gt_u64_e32 vcc_lo, s[4:5], v[4:5]
	s_and_b32 exec_lo, exec_lo, vcc_lo
	s_cbranch_execz .LBB5_17
; %bb.16:
	s_clause 0x1
	global_load_b64 v[4:5], v[0:1], off offset:480
	global_load_b64 v[6:7], v[0:1], off offset:512
	s_waitcnt vmcnt(0)
	v_add_f64 v[4:5], v[4:5], v[6:7]
	global_store_b64 v[2:3], v[4:5], off offset:224
	s_clause 0x1
	global_load_b64 v[4:5], v[0:1], off offset:488
	global_load_b64 v[6:7], v[0:1], off offset:520
	s_waitcnt vmcnt(0)
	v_add_f64 v[4:5], v[4:5], v[6:7]
	global_store_b64 v[2:3], v[4:5], off offset:232
	;; [unrolled: 6-line block ×4, first 2 shown]
.LBB5_17:
	s_nop 0
	s_sendmsg sendmsg(MSG_DEALLOC_VGPRS)
	s_endpgm
	.section	.rodata,"a",@progbits
	.p2align	6, 0x0
	.amdhsa_kernel _ZN4RAJA6policy3hip4impl18forallp_hip_kernelINS1_8hip_execINS_17iteration_mapping6DirectENS_3hip11IndexGlobalILNS_9named_dimE0ELi64ELi0EEENS7_40AvoidDeviceMaxThreadOccupancyConcretizerINS7_34FractionOffsetOccupancyConcretizerINS_8FractionImLm1ELm1EEELln1EEEEELb1EEENS_9Iterators16numeric_iteratorIllPlEEZN8rajaperf4apps12INTSC_HEXHEX17runHipVariantImplILm64EEEvNSM_9VariantIDEEUllE2_lNS_4expt15ForallParamPackIJEEES6_SA_TnNSt9enable_ifIXaasr3std10is_base_ofINS5_10DirectBaseET4_EE5valuegtsrT5_10block_sizeLi0EEmE4typeELm64EEEvT1_T0_T2_T3_
		.amdhsa_group_segment_fixed_size 0
		.amdhsa_private_segment_fixed_size 0
		.amdhsa_kernarg_size 44
		.amdhsa_user_sgpr_count 15
		.amdhsa_user_sgpr_dispatch_ptr 0
		.amdhsa_user_sgpr_queue_ptr 0
		.amdhsa_user_sgpr_kernarg_segment_ptr 1
		.amdhsa_user_sgpr_dispatch_id 0
		.amdhsa_user_sgpr_private_segment_size 0
		.amdhsa_wavefront_size32 1
		.amdhsa_uses_dynamic_stack 0
		.amdhsa_enable_private_segment 0
		.amdhsa_system_sgpr_workgroup_id_x 1
		.amdhsa_system_sgpr_workgroup_id_y 0
		.amdhsa_system_sgpr_workgroup_id_z 0
		.amdhsa_system_sgpr_workgroup_info 0
		.amdhsa_system_vgpr_workitem_id 0
		.amdhsa_next_free_vgpr 10
		.amdhsa_next_free_sgpr 16
		.amdhsa_reserve_vcc 1
		.amdhsa_float_round_mode_32 0
		.amdhsa_float_round_mode_16_64 0
		.amdhsa_float_denorm_mode_32 3
		.amdhsa_float_denorm_mode_16_64 3
		.amdhsa_dx10_clamp 1
		.amdhsa_ieee_mode 1
		.amdhsa_fp16_overflow 0
		.amdhsa_workgroup_processor_mode 1
		.amdhsa_memory_ordered 1
		.amdhsa_forward_progress 0
		.amdhsa_shared_vgpr_count 0
		.amdhsa_exception_fp_ieee_invalid_op 0
		.amdhsa_exception_fp_denorm_src 0
		.amdhsa_exception_fp_ieee_div_zero 0
		.amdhsa_exception_fp_ieee_overflow 0
		.amdhsa_exception_fp_ieee_underflow 0
		.amdhsa_exception_fp_ieee_inexact 0
		.amdhsa_exception_int_div_zero 0
	.end_amdhsa_kernel
	.section	.text._ZN4RAJA6policy3hip4impl18forallp_hip_kernelINS1_8hip_execINS_17iteration_mapping6DirectENS_3hip11IndexGlobalILNS_9named_dimE0ELi64ELi0EEENS7_40AvoidDeviceMaxThreadOccupancyConcretizerINS7_34FractionOffsetOccupancyConcretizerINS_8FractionImLm1ELm1EEELln1EEEEELb1EEENS_9Iterators16numeric_iteratorIllPlEEZN8rajaperf4apps12INTSC_HEXHEX17runHipVariantImplILm64EEEvNSM_9VariantIDEEUllE2_lNS_4expt15ForallParamPackIJEEES6_SA_TnNSt9enable_ifIXaasr3std10is_base_ofINS5_10DirectBaseET4_EE5valuegtsrT5_10block_sizeLi0EEmE4typeELm64EEEvT1_T0_T2_T3_,"axG",@progbits,_ZN4RAJA6policy3hip4impl18forallp_hip_kernelINS1_8hip_execINS_17iteration_mapping6DirectENS_3hip11IndexGlobalILNS_9named_dimE0ELi64ELi0EEENS7_40AvoidDeviceMaxThreadOccupancyConcretizerINS7_34FractionOffsetOccupancyConcretizerINS_8FractionImLm1ELm1EEELln1EEEEELb1EEENS_9Iterators16numeric_iteratorIllPlEEZN8rajaperf4apps12INTSC_HEXHEX17runHipVariantImplILm64EEEvNSM_9VariantIDEEUllE2_lNS_4expt15ForallParamPackIJEEES6_SA_TnNSt9enable_ifIXaasr3std10is_base_ofINS5_10DirectBaseET4_EE5valuegtsrT5_10block_sizeLi0EEmE4typeELm64EEEvT1_T0_T2_T3_,comdat
.Lfunc_end5:
	.size	_ZN4RAJA6policy3hip4impl18forallp_hip_kernelINS1_8hip_execINS_17iteration_mapping6DirectENS_3hip11IndexGlobalILNS_9named_dimE0ELi64ELi0EEENS7_40AvoidDeviceMaxThreadOccupancyConcretizerINS7_34FractionOffsetOccupancyConcretizerINS_8FractionImLm1ELm1EEELln1EEEEELb1EEENS_9Iterators16numeric_iteratorIllPlEEZN8rajaperf4apps12INTSC_HEXHEX17runHipVariantImplILm64EEEvNSM_9VariantIDEEUllE2_lNS_4expt15ForallParamPackIJEEES6_SA_TnNSt9enable_ifIXaasr3std10is_base_ofINS5_10DirectBaseET4_EE5valuegtsrT5_10block_sizeLi0EEmE4typeELm64EEEvT1_T0_T2_T3_, .Lfunc_end5-_ZN4RAJA6policy3hip4impl18forallp_hip_kernelINS1_8hip_execINS_17iteration_mapping6DirectENS_3hip11IndexGlobalILNS_9named_dimE0ELi64ELi0EEENS7_40AvoidDeviceMaxThreadOccupancyConcretizerINS7_34FractionOffsetOccupancyConcretizerINS_8FractionImLm1ELm1EEELln1EEEEELb1EEENS_9Iterators16numeric_iteratorIllPlEEZN8rajaperf4apps12INTSC_HEXHEX17runHipVariantImplILm64EEEvNSM_9VariantIDEEUllE2_lNS_4expt15ForallParamPackIJEEES6_SA_TnNSt9enable_ifIXaasr3std10is_base_ofINS5_10DirectBaseET4_EE5valuegtsrT5_10block_sizeLi0EEmE4typeELm64EEEvT1_T0_T2_T3_
                                        ; -- End function
	.section	.AMDGPU.csdata,"",@progbits
; Kernel info:
; codeLenInByte = 1672
; NumSgprs: 18
; NumVgprs: 10
; ScratchSize: 0
; MemoryBound: 1
; FloatMode: 240
; IeeeMode: 1
; LDSByteSize: 0 bytes/workgroup (compile time only)
; SGPRBlocks: 2
; VGPRBlocks: 1
; NumSGPRsForWavesPerEU: 18
; NumVGPRsForWavesPerEU: 10
; Occupancy: 16
; WaveLimiterHint : 1
; COMPUTE_PGM_RSRC2:SCRATCH_EN: 0
; COMPUTE_PGM_RSRC2:USER_SGPR: 15
; COMPUTE_PGM_RSRC2:TRAP_HANDLER: 0
; COMPUTE_PGM_RSRC2:TGID_X_EN: 1
; COMPUTE_PGM_RSRC2:TGID_Y_EN: 0
; COMPUTE_PGM_RSRC2:TGID_Z_EN: 0
; COMPUTE_PGM_RSRC2:TIDIG_COMP_CNT: 0
	.text
	.p2alignl 7, 3214868480
	.fill 96, 4, 3214868480
	.type	__const._ZN8rajaperf14hex_intsc_subzEPKdS1_iiRdS2_S2_S2_.cyc_nod,@object ; @__const._ZN8rajaperf14hex_intsc_subzEPKdS1_iiRdS2_S2_S2_.cyc_nod
	.section	.rodata,"a",@progbits
	.p2align	4, 0x0
__const._ZN8rajaperf14hex_intsc_subzEPKdS1_iiRdS2_S2_S2_.cyc_nod:
	.long	1                               ; 0x1
	.long	5                               ; 0x5
	.long	4                               ; 0x4
	.long	6                               ; 0x6
	.long	2                               ; 0x2
	.long	3                               ; 0x3
	.long	1                               ; 0x1
	.size	__const._ZN8rajaperf14hex_intsc_subzEPKdS1_iiRdS2_S2_S2_.cyc_nod, 28

	.type	__const._ZN8rajaperf14hex_intsc_subzEPKdS1_iiRdS2_S2_S2_.vert_cyc,@object ; @__const._ZN8rajaperf14hex_intsc_subzEPKdS1_iiRdS2_S2_S2_.vert_cyc
	.p2align	4, 0x0
__const._ZN8rajaperf14hex_intsc_subzEPKdS1_iiRdS2_S2_S2_.vert_cyc:
	.long	1                               ; 0x1
	.long	3                               ; 0x3
	;; [unrolled: 1-line block ×6, first 2 shown]
	.size	__const._ZN8rajaperf14hex_intsc_subzEPKdS1_iiRdS2_S2_S2_.vert_cyc, 24

	.type	__hip_cuid_cf88ef213e0bb9f7,@object ; @__hip_cuid_cf88ef213e0bb9f7
	.section	.bss,"aw",@nobits
	.globl	__hip_cuid_cf88ef213e0bb9f7
__hip_cuid_cf88ef213e0bb9f7:
	.byte	0                               ; 0x0
	.size	__hip_cuid_cf88ef213e0bb9f7, 1

	.ident	"AMD clang version 19.0.0git (https://github.com/RadeonOpenCompute/llvm-project roc-6.4.0 25133 c7fe45cf4b819c5991fe208aaa96edf142730f1d)"
	.section	".note.GNU-stack","",@progbits
	.addrsig
	.addrsig_sym __hip_cuid_cf88ef213e0bb9f7
	.amdgpu_metadata
---
amdhsa.kernels:
  - .args:
      - .address_space:  global
        .offset:         0
        .size:           8
        .value_kind:     global_buffer
      - .address_space:  global
        .offset:         8
        .size:           8
        .value_kind:     global_buffer
      - .offset:         16
        .size:           8
        .value_kind:     by_value
      - .address_space:  global
        .offset:         24
        .size:           8
        .value_kind:     global_buffer
    .group_segment_fixed_size: 128
    .kernarg_segment_align: 8
    .kernarg_segment_size: 32
    .language:       OpenCL C
    .language_version:
      - 2
      - 0
    .max_flat_workgroup_size: 64
    .name:           _ZN8rajaperf4apps16intsc_hexhex_hipILm64EEEvPdS2_mS2_
    .private_segment_fixed_size: 4192
    .sgpr_count:     32
    .sgpr_spill_count: 0
    .symbol:         _ZN8rajaperf4apps16intsc_hexhex_hipILm64EEEvPdS2_mS2_.kd
    .uniform_work_group_size: 1
    .uses_dynamic_stack: false
    .vgpr_count:     256
    .vgpr_spill_count: 4252
    .wavefront_size: 32
    .workgroup_processor_mode: 1
  - .args:
      - .address_space:  global
        .offset:         0
        .size:           8
        .value_kind:     global_buffer
      - .offset:         8
        .size:           8
        .value_kind:     by_value
      - .address_space:  global
        .offset:         16
        .size:           8
        .value_kind:     global_buffer
    .group_segment_fixed_size: 0
    .kernarg_segment_align: 8
    .kernarg_segment_size: 24
    .language:       OpenCL C
    .language_version:
      - 2
      - 0
    .max_flat_workgroup_size: 1024
    .name:           _ZN8rajaperf4apps32intsc_hexhex_hip_fixup_vv_64to72ILm64EEEvPdmS2_
    .private_segment_fixed_size: 0
    .sgpr_count:     16
    .sgpr_spill_count: 0
    .symbol:         _ZN8rajaperf4apps32intsc_hexhex_hip_fixup_vv_64to72ILm64EEEvPdmS2_.kd
    .uniform_work_group_size: 1
    .uses_dynamic_stack: false
    .vgpr_count:     10
    .vgpr_spill_count: 0
    .wavefront_size: 32
    .workgroup_processor_mode: 1
  - .args:
      - .offset:         0
        .size:           8
        .value_kind:     by_value
      - .offset:         8
        .size:           8
        .value_kind:     by_value
      - .offset:         16
        .size:           32
        .value_kind:     by_value
    .group_segment_fixed_size: 128
    .kernarg_segment_align: 8
    .kernarg_segment_size: 48
    .language:       OpenCL C
    .language_version:
      - 2
      - 0
    .max_flat_workgroup_size: 64
    .name:           _ZN8rajaperf17lambda_hip_forallILm64EZNS_4apps12INTSC_HEXHEX17runHipVariantImplILm64EEEvNS_9VariantIDEEUllE_EEvllT0_
    .private_segment_fixed_size: 4240
    .sgpr_count:     30
    .sgpr_spill_count: 0
    .symbol:         _ZN8rajaperf17lambda_hip_forallILm64EZNS_4apps12INTSC_HEXHEX17runHipVariantImplILm64EEEvNS_9VariantIDEEUllE_EEvllT0_.kd
    .uniform_work_group_size: 1
    .uses_dynamic_stack: false
    .vgpr_count:     256
    .vgpr_spill_count: 5349
    .wavefront_size: 32
    .workgroup_processor_mode: 1
  - .args:
      - .offset:         0
        .size:           8
        .value_kind:     by_value
      - .offset:         8
        .size:           8
        .value_kind:     by_value
      - .offset:         16
        .size:           24
        .value_kind:     by_value
    .group_segment_fixed_size: 0
    .kernarg_segment_align: 8
    .kernarg_segment_size: 40
    .language:       OpenCL C
    .language_version:
      - 2
      - 0
    .max_flat_workgroup_size: 64
    .name:           _ZN8rajaperf17lambda_hip_forallILm64EZNS_4apps12INTSC_HEXHEX17runHipVariantImplILm64EEEvNS_9VariantIDEEUllE0_EEvllT0_
    .private_segment_fixed_size: 0
    .sgpr_count:     18
    .sgpr_spill_count: 0
    .symbol:         _ZN8rajaperf17lambda_hip_forallILm64EZNS_4apps12INTSC_HEXHEX17runHipVariantImplILm64EEEvNS_9VariantIDEEUllE0_EEvllT0_.kd
    .uniform_work_group_size: 1
    .uses_dynamic_stack: false
    .vgpr_count:     10
    .vgpr_spill_count: 0
    .wavefront_size: 32
    .workgroup_processor_mode: 1
  - .args:
      - .offset:         0
        .size:           32
        .value_kind:     by_value
      - .offset:         32
        .size:           8
        .value_kind:     by_value
      - .offset:         40
        .size:           8
        .value_kind:     by_value
      - .offset:         48
        .size:           1
        .value_kind:     by_value
    .group_segment_fixed_size: 128
    .kernarg_segment_align: 8
    .kernarg_segment_size: 52
    .language:       OpenCL C
    .language_version:
      - 2
      - 0
    .max_flat_workgroup_size: 64
    .name:           _ZN4RAJA6policy3hip4impl18forallp_hip_kernelINS1_8hip_execINS_17iteration_mapping6DirectENS_3hip11IndexGlobalILNS_9named_dimE0ELi64ELi0EEENS7_40AvoidDeviceMaxThreadOccupancyConcretizerINS7_34FractionOffsetOccupancyConcretizerINS_8FractionImLm1ELm1EEELln1EEEEELb1EEENS_9Iterators16numeric_iteratorIllPlEEZN8rajaperf4apps12INTSC_HEXHEX17runHipVariantImplILm64EEEvNSM_9VariantIDEEUllE1_lNS_4expt15ForallParamPackIJEEES6_SA_TnNSt9enable_ifIXaasr3std10is_base_ofINS5_10DirectBaseET4_EE5valuegtsrT5_10block_sizeLi0EEmE4typeELm64EEEvT1_T0_T2_T3_
    .private_segment_fixed_size: 4496
    .sgpr_count:     30
    .sgpr_spill_count: 0
    .symbol:         _ZN4RAJA6policy3hip4impl18forallp_hip_kernelINS1_8hip_execINS_17iteration_mapping6DirectENS_3hip11IndexGlobalILNS_9named_dimE0ELi64ELi0EEENS7_40AvoidDeviceMaxThreadOccupancyConcretizerINS7_34FractionOffsetOccupancyConcretizerINS_8FractionImLm1ELm1EEELln1EEEEELb1EEENS_9Iterators16numeric_iteratorIllPlEEZN8rajaperf4apps12INTSC_HEXHEX17runHipVariantImplILm64EEEvNSM_9VariantIDEEUllE1_lNS_4expt15ForallParamPackIJEEES6_SA_TnNSt9enable_ifIXaasr3std10is_base_ofINS5_10DirectBaseET4_EE5valuegtsrT5_10block_sizeLi0EEmE4typeELm64EEEvT1_T0_T2_T3_.kd
    .uniform_work_group_size: 1
    .uses_dynamic_stack: false
    .vgpr_count:     256
    .vgpr_spill_count: 5230
    .wavefront_size: 32
    .workgroup_processor_mode: 1
  - .args:
      - .offset:         0
        .size:           24
        .value_kind:     by_value
      - .offset:         24
        .size:           8
        .value_kind:     by_value
      - .offset:         32
        .size:           8
        .value_kind:     by_value
      - .offset:         40
        .size:           1
        .value_kind:     by_value
    .group_segment_fixed_size: 0
    .kernarg_segment_align: 8
    .kernarg_segment_size: 44
    .language:       OpenCL C
    .language_version:
      - 2
      - 0
    .max_flat_workgroup_size: 64
    .name:           _ZN4RAJA6policy3hip4impl18forallp_hip_kernelINS1_8hip_execINS_17iteration_mapping6DirectENS_3hip11IndexGlobalILNS_9named_dimE0ELi64ELi0EEENS7_40AvoidDeviceMaxThreadOccupancyConcretizerINS7_34FractionOffsetOccupancyConcretizerINS_8FractionImLm1ELm1EEELln1EEEEELb1EEENS_9Iterators16numeric_iteratorIllPlEEZN8rajaperf4apps12INTSC_HEXHEX17runHipVariantImplILm64EEEvNSM_9VariantIDEEUllE2_lNS_4expt15ForallParamPackIJEEES6_SA_TnNSt9enable_ifIXaasr3std10is_base_ofINS5_10DirectBaseET4_EE5valuegtsrT5_10block_sizeLi0EEmE4typeELm64EEEvT1_T0_T2_T3_
    .private_segment_fixed_size: 0
    .sgpr_count:     18
    .sgpr_spill_count: 0
    .symbol:         _ZN4RAJA6policy3hip4impl18forallp_hip_kernelINS1_8hip_execINS_17iteration_mapping6DirectENS_3hip11IndexGlobalILNS_9named_dimE0ELi64ELi0EEENS7_40AvoidDeviceMaxThreadOccupancyConcretizerINS7_34FractionOffsetOccupancyConcretizerINS_8FractionImLm1ELm1EEELln1EEEEELb1EEENS_9Iterators16numeric_iteratorIllPlEEZN8rajaperf4apps12INTSC_HEXHEX17runHipVariantImplILm64EEEvNSM_9VariantIDEEUllE2_lNS_4expt15ForallParamPackIJEEES6_SA_TnNSt9enable_ifIXaasr3std10is_base_ofINS5_10DirectBaseET4_EE5valuegtsrT5_10block_sizeLi0EEmE4typeELm64EEEvT1_T0_T2_T3_.kd
    .uniform_work_group_size: 1
    .uses_dynamic_stack: false
    .vgpr_count:     10
    .vgpr_spill_count: 0
    .wavefront_size: 32
    .workgroup_processor_mode: 1
amdhsa.target:   amdgcn-amd-amdhsa--gfx1100
amdhsa.version:
  - 1
  - 2
...

	.end_amdgpu_metadata
